;; amdgpu-corpus repo=ROCm/rocFFT kind=compiled arch=gfx950 opt=O3
	.text
	.amdgcn_target "amdgcn-amd-amdhsa--gfx950"
	.amdhsa_code_object_version 6
	.protected	bluestein_single_back_len325_dim1_half_op_CI_CI ; -- Begin function bluestein_single_back_len325_dim1_half_op_CI_CI
	.globl	bluestein_single_back_len325_dim1_half_op_CI_CI
	.p2align	8
	.type	bluestein_single_back_len325_dim1_half_op_CI_CI,@function
bluestein_single_back_len325_dim1_half_op_CI_CI: ; @bluestein_single_back_len325_dim1_half_op_CI_CI
; %bb.0:
	s_load_dwordx4 s[12:15], s[0:1], 0x28
	v_mul_u32_u24_e32 v1, 0x13b2, v0
	v_lshrrev_b32_e32 v2, 16, v1
	v_mov_b32_e32 v37, 0
	v_lshl_add_u32 v40, s2, 2, v2
	v_mov_b32_e32 v41, v37
	s_waitcnt lgkmcnt(0)
	v_cmp_gt_u64_e32 vcc, s[12:13], v[40:41]
	s_and_saveexec_b64 s[2:3], vcc
	s_cbranch_execz .LBB0_15
; %bb.1:
	s_load_dwordx4 s[8:11], s[0:1], 0x18
	s_load_dwordx2 s[12:13], s[0:1], 0x0
	v_mul_lo_u16_e32 v1, 13, v2
	v_sub_u16_e32 v36, v0, v1
	v_mov_b32_e32 v4, s14
	s_waitcnt lgkmcnt(0)
	s_load_dwordx4 s[4:7], s[8:9], 0x0
	v_mov_b32_e32 v5, s15
	v_and_b32_e32 v2, 3, v2
	v_mul_u32_u24_e32 v19, 0x145, v2
	v_lshlrev_b32_e32 v79, 2, v19
	s_waitcnt lgkmcnt(0)
	v_mad_u64_u32 v[0:1], s[2:3], s6, v40, 0
	v_mov_b32_e32 v6, v1
	v_mad_u64_u32 v[6:7], s[2:3], s7, v40, v[6:7]
	v_mov_b32_e32 v1, v6
	;; [unrolled: 2-line block ×3, first 2 shown]
	v_mad_u64_u32 v[8:9], s[2:3], s5, v36, v[8:9]
	s_mul_i32 s2, s5, 25
	s_mul_hi_u32 s3, s4, 25
	v_mov_b32_e32 v7, v8
	v_lshl_add_u64 v[0:1], v[0:1], 2, v[4:5]
	s_add_i32 s3, s3, s2
	s_mul_i32 s2, s4, 25
	v_lshl_add_u64 v[4:5], v[6:7], 2, v[0:1]
	v_lshlrev_b32_e32 v6, 2, v36
	s_lshl_b64 s[6:7], s[2:3], 2
	global_load_dword v78, v6, s[12:13]
	global_load_dword v8, v[4:5], off
	v_lshl_add_u64 v[4:5], v[4:5], 0, s[6:7]
	global_load_dword v9, v[4:5], off
	global_load_dword v77, v6, s[12:13] offset:100
	v_lshl_add_u64 v[4:5], v[4:5], 0, s[6:7]
	global_load_dword v10, v[4:5], off
	global_load_dword v76, v6, s[12:13] offset:200
	;; [unrolled: 3-line block ×12, first 2 shown]
	v_mov_b32_e32 v7, v37
	v_add_u32_e32 v41, v79, v6
	v_lshl_add_u64 v[38:39], s[12:13], 0, v[6:7]
	s_load_dwordx2 s[2:3], s[0:1], 0x38
	v_cmp_gt_u16_e32 vcc, 12, v36
	s_load_dwordx4 s[8:11], s[10:11], 0x0
	s_waitcnt vmcnt(24)
	v_lshrrev_b32_e32 v6, 16, v8
	v_mul_f16_sdwa v7, v78, v8 dst_sel:DWORD dst_unused:UNUSED_PAD src0_sel:WORD_1 src1_sel:DWORD
	v_mul_f16_sdwa v19, v78, v6 dst_sel:DWORD dst_unused:UNUSED_PAD src0_sel:WORD_1 src1_sel:DWORD
	v_fma_f16 v6, v78, v6, -v7
	s_waitcnt vmcnt(23)
	v_lshrrev_b32_e32 v7, 16, v9
	s_waitcnt vmcnt(22)
	v_mul_f16_sdwa v20, v77, v9 dst_sel:DWORD dst_unused:UNUSED_PAD src0_sel:WORD_1 src1_sel:DWORD
	v_fma_f16 v8, v78, v8, v19
	v_mul_f16_sdwa v19, v77, v7 dst_sel:DWORD dst_unused:UNUSED_PAD src0_sel:WORD_1 src1_sel:DWORD
	v_fma_f16 v7, v77, v7, -v20
	s_waitcnt vmcnt(21)
	v_lshrrev_b32_e32 v20, 16, v10
	s_waitcnt vmcnt(20)
	v_mul_f16_sdwa v21, v76, v10 dst_sel:DWORD dst_unused:UNUSED_PAD src0_sel:WORD_1 src1_sel:DWORD
	v_pack_b32_f16 v6, v8, v6
	v_fma_f16 v8, v77, v9, v19
	v_mul_f16_sdwa v9, v76, v20 dst_sel:DWORD dst_unused:UNUSED_PAD src0_sel:WORD_1 src1_sel:DWORD
	v_fma_f16 v19, v76, v20, -v21
	s_waitcnt vmcnt(19)
	v_lshrrev_b32_e32 v20, 16, v11
	s_waitcnt vmcnt(18)
	v_mul_f16_sdwa v21, v75, v11 dst_sel:DWORD dst_unused:UNUSED_PAD src0_sel:WORD_1 src1_sel:DWORD
	v_pack_b32_f16 v7, v8, v7
	v_fma_f16 v8, v76, v10, v9
	v_mul_f16_sdwa v9, v75, v20 dst_sel:DWORD dst_unused:UNUSED_PAD src0_sel:WORD_1 src1_sel:DWORD
	v_fma_f16 v10, v75, v20, -v21
	s_waitcnt vmcnt(17)
	v_lshrrev_b32_e32 v20, 16, v12
	ds_write2_b32 v41, v6, v7 offset1:25
	v_fma_f16 v7, v75, v11, v9
	s_waitcnt vmcnt(16)
	v_mul_f16_sdwa v21, v74, v12 dst_sel:DWORD dst_unused:UNUSED_PAD src0_sel:WORD_1 src1_sel:DWORD
	v_pack_b32_f16 v6, v8, v19
	v_mul_f16_sdwa v8, v74, v20 dst_sel:DWORD dst_unused:UNUSED_PAD src0_sel:WORD_1 src1_sel:DWORD
	v_pack_b32_f16 v7, v7, v10
	v_fma_f16 v9, v74, v20, -v21
	v_fma_f16 v8, v74, v12, v8
	ds_write2_b32 v41, v6, v7 offset0:50 offset1:75
	s_waitcnt vmcnt(15)
	v_lshrrev_b32_e32 v7, 16, v13
	v_pack_b32_f16 v6, v8, v9
	s_waitcnt vmcnt(14)
	v_mul_f16_sdwa v8, v73, v7 dst_sel:DWORD dst_unused:UNUSED_PAD src0_sel:WORD_1 src1_sel:DWORD
	v_mul_f16_sdwa v9, v73, v13 dst_sel:DWORD dst_unused:UNUSED_PAD src0_sel:WORD_1 src1_sel:DWORD
	v_fma_f16 v8, v73, v13, v8
	v_fma_f16 v7, v73, v7, -v9
	v_pack_b32_f16 v7, v8, v7
	ds_write2_b32 v41, v6, v7 offset0:100 offset1:125
	s_waitcnt vmcnt(13)
	v_lshrrev_b32_e32 v6, 16, v14
	s_waitcnt vmcnt(12)
	v_mul_f16_sdwa v7, v72, v6 dst_sel:DWORD dst_unused:UNUSED_PAD src0_sel:WORD_1 src1_sel:DWORD
	v_mul_f16_sdwa v8, v72, v14 dst_sel:DWORD dst_unused:UNUSED_PAD src0_sel:WORD_1 src1_sel:DWORD
	v_fma_f16 v7, v72, v14, v7
	v_fma_f16 v6, v72, v6, -v8
	v_pack_b32_f16 v6, v7, v6
	s_waitcnt vmcnt(11)
	v_lshrrev_b32_e32 v7, 16, v15
	s_waitcnt vmcnt(10)
	v_mul_f16_sdwa v8, v71, v7 dst_sel:DWORD dst_unused:UNUSED_PAD src0_sel:WORD_1 src1_sel:DWORD
	v_mul_f16_sdwa v9, v71, v15 dst_sel:DWORD dst_unused:UNUSED_PAD src0_sel:WORD_1 src1_sel:DWORD
	v_fma_f16 v8, v71, v15, v8
	v_fma_f16 v7, v71, v7, -v9
	v_pack_b32_f16 v7, v8, v7
	ds_write2_b32 v41, v6, v7 offset0:150 offset1:175
	s_waitcnt vmcnt(9)
	v_lshrrev_b32_e32 v6, 16, v16
	s_waitcnt vmcnt(8)
	v_mul_f16_sdwa v7, v70, v6 dst_sel:DWORD dst_unused:UNUSED_PAD src0_sel:WORD_1 src1_sel:DWORD
	v_mul_f16_sdwa v8, v70, v16 dst_sel:DWORD dst_unused:UNUSED_PAD src0_sel:WORD_1 src1_sel:DWORD
	v_fma_f16 v7, v70, v16, v7
	v_fma_f16 v6, v70, v6, -v8
	v_pack_b32_f16 v6, v7, v6
	s_waitcnt vmcnt(7)
	v_lshrrev_b32_e32 v7, 16, v17
	;; [unrolled: 17-line block ×3, first 2 shown]
	s_waitcnt vmcnt(2)
	v_mul_f16_sdwa v8, v67, v7 dst_sel:DWORD dst_unused:UNUSED_PAD src0_sel:WORD_1 src1_sel:DWORD
	v_fma_f16 v8, v67, v4, v8
	v_mul_f16_sdwa v4, v67, v4 dst_sel:DWORD dst_unused:UNUSED_PAD src0_sel:WORD_1 src1_sel:DWORD
	v_fma_f16 v4, v67, v7, -v4
	v_pack_b32_f16 v7, v8, v4
	v_add_u32_e32 v4, 0x200, v41
	ds_write2_b32 v4, v6, v7 offset0:122 offset1:147
	s_waitcnt vmcnt(1)
	v_lshrrev_b32_e32 v6, 16, v5
	s_waitcnt vmcnt(0)
	v_mul_f16_sdwa v7, v66, v6 dst_sel:DWORD dst_unused:UNUSED_PAD src0_sel:WORD_1 src1_sel:DWORD
	v_fma_f16 v7, v66, v5, v7
	v_mul_f16_sdwa v5, v66, v5 dst_sel:DWORD dst_unused:UNUSED_PAD src0_sel:WORD_1 src1_sel:DWORD
	v_fma_f16 v5, v66, v6, -v5
	v_pack_b32_f16 v5, v7, v5
	ds_write_b32 v41, v5 offset:1200
	s_and_saveexec_b64 s[14:15], vcc
	s_cbranch_execz .LBB0_3
; %bb.2:
	v_mov_b32_e32 v5, 0xfffffb84
	v_mad_u64_u32 v[2:3], s[16:17], s4, v5, v[2:3]
	s_mul_i32 s16, s5, 0xfffffb84
	s_sub_i32 s16, s16, s4
	v_add_u32_e32 v3, s16, v3
	global_load_dword v5, v[2:3], off
	global_load_dword v10, v[38:39], off offset:52
	v_lshl_add_u64 v[2:3], v[2:3], 0, s[6:7]
	global_load_dword v11, v[2:3], off
	global_load_dword v12, v[38:39], off offset:152
	v_lshl_add_u64 v[2:3], v[2:3], 0, s[6:7]
	;; [unrolled: 3-line block ×9, first 2 shown]
	global_load_dword v27, v[2:3], off
	global_load_dword v28, v[38:39], off offset:952
	v_or_b32_e32 v9, 0x120, v36
	v_mad_u64_u32 v[6:7], s[16:17], s4, v9, 0
	v_mov_b32_e32 v8, v7
	v_lshl_add_u64 v[2:3], v[2:3], 0, s[6:7]
	global_load_dword v29, v[2:3], off
	global_load_dword v30, v[38:39], off offset:1052
	v_mad_u64_u32 v[8:9], s[6:7], s5, v9, v[8:9]
	v_mov_b32_e32 v7, v8
	v_lshl_add_u64 v[0:1], v[6:7], 2, v[0:1]
	global_load_dword v6, v[0:1], off
	global_load_dword v7, v[38:39], off offset:1152
	v_mov_b32_e32 v0, 0xc8
	s_mul_i32 s6, s5, 0xc8
	v_mad_u64_u32 v[0:1], s[4:5], s4, v0, v[2:3]
	v_add_u32_e32 v1, s6, v1
	global_load_dword v0, v[0:1], off
	s_waitcnt vmcnt(24)
	v_lshrrev_b32_e32 v1, 16, v5
	global_load_dword v8, v[38:39], off offset:1252
	s_waitcnt vmcnt(24)
	v_mul_f16_sdwa v2, v10, v5 dst_sel:DWORD dst_unused:UNUSED_PAD src0_sel:WORD_1 src1_sel:DWORD
	v_mul_f16_sdwa v3, v10, v1 dst_sel:DWORD dst_unused:UNUSED_PAD src0_sel:WORD_1 src1_sel:DWORD
	v_fma_f16 v1, v10, v1, -v2
	s_waitcnt vmcnt(23)
	v_lshrrev_b32_e32 v2, 16, v11
	s_waitcnt vmcnt(22)
	v_mul_f16_sdwa v9, v12, v11 dst_sel:DWORD dst_unused:UNUSED_PAD src0_sel:WORD_1 src1_sel:DWORD
	v_fma_f16 v3, v10, v5, v3
	v_mul_f16_sdwa v5, v12, v2 dst_sel:DWORD dst_unused:UNUSED_PAD src0_sel:WORD_1 src1_sel:DWORD
	v_fma_f16 v2, v12, v2, -v9
	s_waitcnt vmcnt(21)
	v_lshrrev_b32_e32 v9, 16, v13
	s_waitcnt vmcnt(20)
	v_mul_f16_sdwa v10, v14, v13 dst_sel:DWORD dst_unused:UNUSED_PAD src0_sel:WORD_1 src1_sel:DWORD
	v_pack_b32_f16 v1, v3, v1
	v_fma_f16 v3, v12, v11, v5
	v_mul_f16_sdwa v5, v14, v9 dst_sel:DWORD dst_unused:UNUSED_PAD src0_sel:WORD_1 src1_sel:DWORD
	v_fma_f16 v9, v14, v9, -v10
	s_waitcnt vmcnt(19)
	v_lshrrev_b32_e32 v10, 16, v15
	s_waitcnt vmcnt(18)
	v_mul_f16_sdwa v11, v16, v15 dst_sel:DWORD dst_unused:UNUSED_PAD src0_sel:WORD_1 src1_sel:DWORD
	v_pack_b32_f16 v2, v3, v2
	v_fma_f16 v3, v14, v13, v5
	v_mul_f16_sdwa v5, v16, v10 dst_sel:DWORD dst_unused:UNUSED_PAD src0_sel:WORD_1 src1_sel:DWORD
	v_fma_f16 v10, v16, v10, -v11
	s_waitcnt vmcnt(17)
	v_lshrrev_b32_e32 v11, 16, v17
	s_waitcnt vmcnt(16)
	v_mul_f16_sdwa v12, v18, v17 dst_sel:DWORD dst_unused:UNUSED_PAD src0_sel:WORD_1 src1_sel:DWORD
	ds_write2_b32 v41, v1, v2 offset0:13 offset1:38
	v_pack_b32_f16 v1, v3, v9
	v_fma_f16 v2, v16, v15, v5
	v_mul_f16_sdwa v3, v18, v11 dst_sel:DWORD dst_unused:UNUSED_PAD src0_sel:WORD_1 src1_sel:DWORD
	s_waitcnt vmcnt(15)
	v_lshrrev_b32_e32 v9, 16, v19
	v_fma_f16 v5, v18, v11, -v12
	s_waitcnt vmcnt(14)
	v_mul_f16_sdwa v11, v20, v19 dst_sel:DWORD dst_unused:UNUSED_PAD src0_sel:WORD_1 src1_sel:DWORD
	v_pack_b32_f16 v2, v2, v10
	v_fma_f16 v3, v18, v17, v3
	v_mul_f16_sdwa v10, v20, v9 dst_sel:DWORD dst_unused:UNUSED_PAD src0_sel:WORD_1 src1_sel:DWORD
	ds_write2_b32 v41, v1, v2 offset0:63 offset1:88
	v_pack_b32_f16 v1, v3, v5
	v_fma_f16 v2, v20, v19, v10
	v_fma_f16 v3, v20, v9, -v11
	v_pack_b32_f16 v2, v2, v3
	ds_write2_b32 v41, v1, v2 offset0:113 offset1:138
	s_waitcnt vmcnt(13)
	v_lshrrev_b32_e32 v1, 16, v21
	s_waitcnt vmcnt(12)
	v_mul_f16_sdwa v2, v22, v1 dst_sel:DWORD dst_unused:UNUSED_PAD src0_sel:WORD_1 src1_sel:DWORD
	v_mul_f16_sdwa v3, v22, v21 dst_sel:DWORD dst_unused:UNUSED_PAD src0_sel:WORD_1 src1_sel:DWORD
	v_fma_f16 v2, v22, v21, v2
	v_fma_f16 v1, v22, v1, -v3
	v_pack_b32_f16 v1, v2, v1
	s_waitcnt vmcnt(11)
	v_lshrrev_b32_e32 v2, 16, v23
	s_waitcnt vmcnt(10)
	v_mul_f16_sdwa v3, v24, v2 dst_sel:DWORD dst_unused:UNUSED_PAD src0_sel:WORD_1 src1_sel:DWORD
	v_mul_f16_sdwa v5, v24, v23 dst_sel:DWORD dst_unused:UNUSED_PAD src0_sel:WORD_1 src1_sel:DWORD
	v_fma_f16 v3, v24, v23, v3
	v_fma_f16 v2, v24, v2, -v5
	v_pack_b32_f16 v2, v3, v2
	ds_write2_b32 v41, v1, v2 offset0:163 offset1:188
	s_waitcnt vmcnt(9)
	v_lshrrev_b32_e32 v1, 16, v25
	s_waitcnt vmcnt(8)
	v_mul_f16_sdwa v2, v26, v1 dst_sel:DWORD dst_unused:UNUSED_PAD src0_sel:WORD_1 src1_sel:DWORD
	v_mul_f16_sdwa v3, v26, v25 dst_sel:DWORD dst_unused:UNUSED_PAD src0_sel:WORD_1 src1_sel:DWORD
	v_fma_f16 v2, v26, v25, v2
	v_fma_f16 v1, v26, v1, -v3
	v_pack_b32_f16 v1, v2, v1
	s_waitcnt vmcnt(7)
	v_lshrrev_b32_e32 v2, 16, v27
	s_waitcnt vmcnt(6)
	v_mul_f16_sdwa v3, v28, v2 dst_sel:DWORD dst_unused:UNUSED_PAD src0_sel:WORD_1 src1_sel:DWORD
	v_mul_f16_sdwa v5, v28, v27 dst_sel:DWORD dst_unused:UNUSED_PAD src0_sel:WORD_1 src1_sel:DWORD
	;; [unrolled: 17-line block ×3, first 2 shown]
	v_fma_f16 v3, v7, v6, v3
	v_fma_f16 v2, v7, v2, -v5
	v_pack_b32_f16 v2, v3, v2
	v_add_u32_e32 v3, 0x400, v41
	ds_write2_b32 v3, v1, v2 offset0:7 offset1:32
	s_waitcnt vmcnt(1)
	v_lshrrev_b32_e32 v1, 16, v0
	s_waitcnt vmcnt(0)
	v_mul_f16_sdwa v2, v8, v1 dst_sel:DWORD dst_unused:UNUSED_PAD src0_sel:WORD_1 src1_sel:DWORD
	v_fma_f16 v2, v8, v0, v2
	v_mul_f16_sdwa v0, v8, v0 dst_sel:DWORD dst_unused:UNUSED_PAD src0_sel:WORD_1 src1_sel:DWORD
	v_fma_f16 v0, v8, v1, -v0
	v_pack_b32_f16 v0, v2, v0
	ds_write_b32 v41, v0 offset:1252
.LBB0_3:
	s_or_b64 exec, exec, s[14:15]
	s_waitcnt lgkmcnt(0)
	; wave barrier
	s_waitcnt lgkmcnt(0)
	ds_read2_b32 v[14:15], v41 offset1:25
	ds_read2_b32 v[20:21], v41 offset0:50 offset1:75
	ds_read2_b32 v[16:17], v41 offset0:100 offset1:125
	;; [unrolled: 1-line block ×5, first 2 shown]
	ds_read_b32 v43, v41 offset:1200
	s_load_dwordx2 s[0:1], s[0:1], 0x8
	v_mov_b32_e32 v0, 0
                                        ; implicit-def: $vgpr3
                                        ; implicit-def: $vgpr25
                                        ; implicit-def: $vgpr4
                                        ; implicit-def: $vgpr31
                                        ; implicit-def: $vgpr32
                                        ; implicit-def: $vgpr6
                                        ; implicit-def: $vgpr33
                                        ; implicit-def: $vgpr34
                                        ; implicit-def: $vgpr42
                                        ; implicit-def: $vgpr35
                                        ; implicit-def: $vgpr24
                                        ; implicit-def: $vgpr9
                                        ; implicit-def: $vgpr26
                                        ; implicit-def: $vgpr27
                                        ; implicit-def: $vgpr11
                                        ; implicit-def: $vgpr28
                                        ; implicit-def: $vgpr29
                                        ; implicit-def: $vgpr30
	s_and_saveexec_b64 s[4:5], vcc
	s_cbranch_execz .LBB0_5
; %bb.4:
	v_add_u32_e32 v6, 0x400, v41
	ds_read2_b32 v[0:1], v41 offset0:13 offset1:38
	ds_read2_b32 v[10:11], v41 offset0:63 offset1:88
	ds_read2_b32 v[8:9], v41 offset0:113 offset1:138
	ds_read2_b32 v[2:3], v41 offset0:163 offset1:188
	ds_read2_b32 v[4:5], v41 offset0:213 offset1:238
	ds_read2_b32 v[6:7], v6 offset0:7 offset1:32
	ds_read_b32 v42, v41 offset:1252
	s_waitcnt lgkmcnt(0)
	v_lshrrev_b32_e32 v30, 16, v1
	v_lshrrev_b32_e32 v29, 16, v10
	v_lshrrev_b32_e32 v28, 16, v11
	v_lshrrev_b32_e32 v27, 16, v8
	v_lshrrev_b32_e32 v26, 16, v9
	v_lshrrev_b32_e32 v24, 16, v2
	v_lshrrev_b32_e32 v25, 16, v3
	v_lshrrev_b32_e32 v31, 16, v4
	v_lshrrev_b32_e32 v32, 16, v5
	v_lshrrev_b32_e32 v33, 16, v6
	v_lshrrev_b32_e32 v34, 16, v7
	v_lshrrev_b32_e32 v35, 16, v42
.LBB0_5:
	s_or_b64 exec, exec, s[4:5]
	s_waitcnt lgkmcnt(0)
	v_add_f16_e32 v44, v14, v15
	v_add_f16_sdwa v45, v14, v15 dst_sel:DWORD dst_unused:UNUSED_PAD src0_sel:WORD_1 src1_sel:WORD_1
	v_add_f16_e32 v44, v44, v20
	v_add_f16_sdwa v45, v45, v20 dst_sel:DWORD dst_unused:UNUSED_PAD src0_sel:DWORD src1_sel:WORD_1
	v_add_f16_e32 v44, v44, v21
	v_add_f16_sdwa v45, v45, v21 dst_sel:DWORD dst_unused:UNUSED_PAD src0_sel:DWORD src1_sel:WORD_1
	;; [unrolled: 2-line block ×9, first 2 shown]
	v_sub_f16_sdwa v47, v15, v43 dst_sel:DWORD dst_unused:UNUSED_PAD src0_sel:WORD_1 src1_sel:WORD_1
	v_add_f16_e32 v44, v44, v23
	v_add_f16_sdwa v45, v45, v23 dst_sel:DWORD dst_unused:UNUSED_PAD src0_sel:DWORD src1_sel:WORD_1
	v_add_f16_e32 v46, v43, v15
	v_mul_f16_e32 v48, 0xb770, v47
	s_movk_i32 s6, 0x3b15
	v_mul_f16_e32 v50, 0xba95, v47
	s_movk_i32 s7, 0x388b
	v_add_f16_e32 v52, v23, v20
	v_add_f16_sdwa v53, v23, v20 dst_sel:DWORD dst_unused:UNUSED_PAD src0_sel:WORD_1 src1_sel:WORD_1
	v_sub_f16_e32 v54, v20, v23
	v_sub_f16_sdwa v20, v20, v23 dst_sel:DWORD dst_unused:UNUSED_PAD src0_sel:WORD_1 src1_sel:WORD_1
	v_add_f16_e32 v23, v22, v21
	v_add_f16_sdwa v55, v22, v21 dst_sel:DWORD dst_unused:UNUSED_PAD src0_sel:WORD_1 src1_sel:WORD_1
	v_sub_f16_e32 v56, v21, v22
	v_sub_f16_sdwa v21, v21, v22 dst_sel:DWORD dst_unused:UNUSED_PAD src0_sel:WORD_1 src1_sel:WORD_1
	;; [unrolled: 4-line block ×4, first 2 shown]
	v_mul_f16_e32 v18, 0xbbf1, v47
	s_movk_i32 s14, 0x2fb7
	v_mul_f16_e32 v62, 0xbb7b, v47
	s_mov_b32 s16, 0xb5ac
	s_mov_b32 s15, 0xb9fd
	v_mul_f16_e32 v64, 0xb94e, v47
	v_mul_f16_e32 v47, 0xb3a8, v47
	s_mov_b32 s17, 0xbbc4
	v_fma_f16 v49, v46, s6, -v48
	v_fma_f16 v48, v46, s6, v48
	v_fma_f16 v51, v46, s7, -v50
	v_fma_f16 v50, v46, s7, v50
	;; [unrolled: 2-line block ×6, first 2 shown]
	v_add_f16_sdwa v47, v43, v15 dst_sel:DWORD dst_unused:UNUSED_PAD src0_sel:WORD_1 src1_sel:WORD_1
	v_sub_f16_e32 v15, v15, v43
	v_mul_f16_e32 v81, 0xb770, v15
	v_mul_f16_e32 v83, 0xba95, v15
	v_mul_f16_e32 v85, 0xbbf1, v15
	v_mul_f16_e32 v87, 0xbb7b, v15
	v_mul_f16_e32 v89, 0xb94e, v15
	v_mul_f16_e32 v15, 0xb3a8, v15
	v_fma_f16 v82, v47, s6, v81
	v_fma_f16 v81, v47, s6, -v81
	v_fma_f16 v84, v47, s7, v83
	v_fma_f16 v83, v47, s7, -v83
	;; [unrolled: 2-line block ×6, first 2 shown]
	v_add_f16_e32 v47, v14, v49
	v_add_f16_sdwa v49, v14, v82 dst_sel:DWORD dst_unused:UNUSED_PAD src0_sel:WORD_1 src1_sel:DWORD
	v_add_f16_e32 v48, v14, v48
	v_add_f16_sdwa v81, v14, v81 dst_sel:DWORD dst_unused:UNUSED_PAD src0_sel:WORD_1 src1_sel:DWORD
	;; [unrolled: 2-line block ×12, first 2 shown]
	v_add_f16_e32 v15, v44, v43
	v_mul_f16_e32 v44, 0xba95, v20
	v_add_f16_sdwa v43, v45, v43 dst_sel:DWORD dst_unused:UNUSED_PAD src0_sel:DWORD src1_sel:WORD_1
	v_fma_f16 v45, v52, s7, -v44
	v_add_f16_e32 v45, v45, v47
	v_mul_f16_e32 v47, 0xba95, v54
	v_fma_f16 v44, v52, s7, v44
	v_fma_f16 v91, v53, s7, v47
	v_add_f16_e32 v44, v44, v48
	v_fma_f16 v47, v53, s7, -v47
	v_mul_f16_e32 v48, 0xbb7b, v20
	v_add_f16_e32 v47, v47, v81
	v_fma_f16 v81, v52, s16, -v48
	v_add_f16_e32 v51, v81, v51
	v_mul_f16_e32 v81, 0xbb7b, v54
	v_fma_f16 v48, v52, s16, v48
	v_add_f16_e32 v49, v91, v49
	v_fma_f16 v91, v53, s16, v81
	v_add_f16_e32 v48, v48, v50
	v_fma_f16 v50, v53, s16, -v81
	v_mul_f16_e32 v81, 0xb3a8, v20
	v_add_f16_e32 v50, v50, v83
	v_fma_f16 v83, v52, s17, -v81
	v_add_f16_e32 v61, v83, v61
	v_mul_f16_e32 v83, 0xb3a8, v54
	v_fma_f16 v81, v52, s17, v81
	v_add_f16_e32 v82, v91, v82
	;; [unrolled: 10-line block ×3, first 2 shown]
	v_fma_f16 v91, v53, s15, v85
	v_add_f16_e32 v62, v83, v62
	v_fma_f16 v83, v53, s15, -v85
	v_mul_f16_e32 v85, 0x3bf1, v20
	v_add_f16_e32 v83, v83, v87
	v_fma_f16 v87, v52, s14, -v85
	v_add_f16_e32 v65, v87, v65
	v_mul_f16_e32 v87, 0x3bf1, v54
	v_fma_f16 v85, v52, s14, v85
	v_mul_f16_e32 v20, 0x3770, v20
	v_add_f16_e32 v86, v91, v86
	v_fma_f16 v91, v53, s14, v87
	v_add_f16_e32 v64, v85, v64
	v_fma_f16 v85, v53, s14, -v87
	v_fma_f16 v87, v52, s6, -v20
	v_mul_f16_e32 v54, 0x3770, v54
	v_fma_f16 v20, v52, s6, v20
	v_add_f16_e32 v20, v20, v46
	v_fma_f16 v46, v53, s6, -v54
	v_add_f16_e32 v14, v46, v14
	v_mul_f16_e32 v46, 0xbbf1, v21
	v_fma_f16 v52, v23, s14, -v46
	v_add_f16_e32 v45, v52, v45
	v_mul_f16_e32 v52, 0xbbf1, v56
	v_fma_f16 v46, v23, s14, v46
	v_add_f16_e32 v44, v46, v44
	v_fma_f16 v46, v55, s14, -v52
	v_add_f16_e32 v46, v46, v47
	v_mul_f16_e32 v47, 0xb3a8, v21
	v_add_f16_e32 v80, v87, v80
	v_fma_f16 v87, v53, s6, v54
	v_fma_f16 v53, v55, s14, v52
	v_fma_f16 v52, v23, s17, -v47
	v_add_f16_e32 v51, v52, v51
	v_mul_f16_e32 v52, 0xb3a8, v56
	v_fma_f16 v47, v23, s17, v47
	v_add_f16_e32 v47, v47, v48
	v_fma_f16 v48, v55, s17, -v52
	v_add_f16_e32 v48, v48, v50
	v_mul_f16_e32 v50, 0x3b7b, v21
	v_add_f16_e32 v49, v53, v49
	v_fma_f16 v53, v55, s17, v52
	v_fma_f16 v52, v23, s16, -v50
	v_mul_f16_e32 v54, 0x3b7b, v56
	v_fma_f16 v50, v23, s16, v50
	v_add_f16_e32 v52, v52, v61
	v_fma_f16 v61, v55, s16, v54
	v_add_f16_e32 v18, v50, v18
	v_fma_f16 v50, v55, s16, -v54
	v_mul_f16_e32 v54, 0x3770, v21
	v_add_f16_e32 v50, v50, v81
	v_fma_f16 v81, v23, s6, -v54
	v_add_f16_e32 v63, v81, v63
	v_mul_f16_e32 v81, 0x3770, v56
	v_fma_f16 v54, v23, s6, v54
	v_add_f16_e32 v53, v53, v82
	v_fma_f16 v82, v55, s6, v81
	v_add_f16_e32 v54, v54, v62
	v_fma_f16 v62, v55, s6, -v81
	v_mul_f16_e32 v81, 0xba95, v21
	v_add_f16_e32 v62, v62, v83
	v_fma_f16 v83, v23, s7, -v81
	v_add_f16_e32 v65, v83, v65
	v_mul_f16_e32 v83, 0xba95, v56
	v_fma_f16 v81, v23, s7, v81
	v_mul_f16_e32 v21, 0xb94e, v21
	v_add_f16_e32 v61, v61, v84
	v_fma_f16 v84, v55, s7, v83
	v_add_f16_e32 v64, v81, v64
	v_fma_f16 v81, v55, s7, -v83
	v_fma_f16 v83, v23, s15, -v21
	v_mul_f16_e32 v56, 0xb94e, v56
	v_fma_f16 v21, v23, s15, v21
	v_add_f16_e32 v20, v21, v20
	v_fma_f16 v21, v55, s15, -v56
	v_add_f16_e32 v14, v21, v14
	v_mul_f16_e32 v21, 0xbb7b, v16
	v_fma_f16 v23, v22, s16, -v21
	v_add_f16_e32 v23, v23, v45
	v_mul_f16_e32 v45, 0xbb7b, v58
	v_fma_f16 v21, v22, s16, v21
	v_add_f16_e32 v80, v83, v80
	v_fma_f16 v83, v55, s15, v56
	v_fma_f16 v55, v57, s16, v45
	v_add_f16_e32 v21, v21, v44
	v_fma_f16 v44, v57, s16, -v45
	v_mul_f16_e32 v45, 0x394e, v16
	v_add_f16_e32 v44, v44, v46
	v_fma_f16 v46, v22, s15, -v45
	v_add_f16_e32 v46, v46, v51
	v_mul_f16_e32 v51, 0x394e, v58
	v_fma_f16 v45, v22, s15, v45
	v_add_f16_e32 v45, v45, v47
	v_fma_f16 v47, v57, s15, -v51
	v_add_f16_e32 v47, v47, v48
	v_mul_f16_e32 v48, 0x3770, v16
	v_add_f16_e32 v49, v55, v49
	v_fma_f16 v55, v57, s15, v51
	v_fma_f16 v51, v22, s6, -v48
	v_add_f16_e32 v51, v51, v52
	v_mul_f16_e32 v52, 0x3770, v58
	v_fma_f16 v48, v22, s6, v48
	v_add_f16_e32 v18, v48, v18
	v_fma_f16 v48, v57, s6, -v52
	v_add_f16_e32 v48, v48, v50
	v_mul_f16_e32 v50, 0xbbf1, v16
	v_add_f16_e32 v53, v55, v53
	v_fma_f16 v55, v57, s6, v52
	v_fma_f16 v52, v22, s14, -v50
	v_mul_f16_e32 v56, 0xbbf1, v58
	v_fma_f16 v50, v22, s14, v50
	v_add_f16_e32 v55, v55, v61
	v_fma_f16 v61, v57, s14, v56
	v_add_f16_e32 v50, v50, v54
	v_fma_f16 v54, v57, s14, -v56
	v_mul_f16_e32 v56, 0x33a8, v16
	v_add_f16_e32 v54, v54, v62
	v_fma_f16 v62, v22, s17, -v56
	v_fma_f16 v56, v22, s17, v56
	v_mul_f16_e32 v16, 0x3a95, v16
	v_add_f16_e32 v52, v52, v63
	v_mul_f16_e32 v63, 0x33a8, v58
	v_add_f16_e32 v56, v56, v64
	v_fma_f16 v64, v22, s7, -v16
	v_mul_f16_e32 v58, 0x3a95, v58
	v_fma_f16 v16, v22, s7, v16
	v_add_f16_e32 v16, v16, v20
	v_fma_f16 v20, v57, s7, -v58
	v_add_f16_e32 v14, v20, v14
	v_mul_f16_e32 v20, 0xb94e, v17
	v_fma_f16 v22, v19, s15, -v20
	v_add_f16_e32 v22, v22, v23
	v_mul_f16_e32 v23, 0xb94e, v60
	v_fma_f16 v20, v19, s15, v20
	v_add_f16_e32 v62, v62, v65
	v_fma_f16 v65, v57, s17, v63
	v_fma_f16 v63, v57, s17, -v63
	v_add_f16_e32 v64, v64, v80
	v_fma_f16 v80, v57, s7, v58
	v_fma_f16 v57, v59, s15, v23
	v_add_f16_e32 v20, v20, v21
	v_fma_f16 v21, v59, s15, -v23
	v_mul_f16_e32 v23, 0x3bf1, v17
	v_add_f16_e32 v21, v21, v44
	v_fma_f16 v44, v19, s14, -v23
	v_add_f16_e32 v44, v44, v46
	v_mul_f16_e32 v46, 0x3bf1, v60
	v_fma_f16 v23, v19, s14, v23
	v_add_f16_e32 v49, v57, v49
	v_fma_f16 v57, v59, s14, v46
	v_add_f16_e32 v23, v23, v45
	v_fma_f16 v45, v59, s14, -v46
	v_mul_f16_e32 v46, 0xba95, v17
	v_add_f16_e32 v45, v45, v47
	v_fma_f16 v47, v19, s7, -v46
	v_add_f16_e32 v47, v47, v51
	v_mul_f16_e32 v51, 0xba95, v60
	v_fma_f16 v46, v19, s7, v46
	v_add_f16_e32 v18, v46, v18
	v_fma_f16 v46, v59, s7, -v51
	v_add_f16_e32 v46, v46, v48
	v_mul_f16_e32 v48, 0x33a8, v17
	v_add_f16_e32 v53, v57, v53
	v_fma_f16 v57, v59, s7, v51
	v_fma_f16 v51, v19, s17, -v48
	v_add_f16_e32 v51, v51, v52
	v_mul_f16_e32 v52, 0x33a8, v60
	v_fma_f16 v48, v19, s17, v48
	v_add_f16_e32 v82, v82, v86
	v_add_f16_e32 v55, v57, v55
	v_fma_f16 v57, v59, s17, v52
	v_add_f16_e32 v48, v48, v50
	v_fma_f16 v50, v59, s17, -v52
	v_mul_f16_e32 v52, 0x3770, v17
	v_add_f16_e32 v61, v61, v82
	v_add_f16_e32 v50, v50, v54
	v_fma_f16 v54, v19, s6, -v52
	v_mul_f16_e32 v58, 0x3770, v60
	v_fma_f16 v52, v19, s6, v52
	v_mul_f16_e32 v17, 0xbb7b, v17
	v_add_f16_e32 v57, v57, v61
	v_fma_f16 v61, v59, s6, v58
	v_add_f16_e32 v52, v52, v56
	v_fma_f16 v56, v59, s6, -v58
	v_fma_f16 v58, v19, s16, -v17
	v_mul_f16_e32 v60, 0xbb7b, v60
	v_fma_f16 v17, v19, s16, v17
	v_add_f16_e32 v16, v17, v16
	v_fma_f16 v17, v59, s16, -v60
	v_add_f16_e32 v54, v54, v62
	v_fma_f16 v62, v59, s16, v60
	v_add_f16_e32 v14, v17, v14
	v_add_f16_e32 v17, v13, v12
	v_add_f16_sdwa v19, v13, v12 dst_sel:DWORD dst_unused:UNUSED_PAD src0_sel:WORD_1 src1_sel:WORD_1
	v_sub_f16_e32 v59, v12, v13
	v_sub_f16_sdwa v12, v12, v13 dst_sel:DWORD dst_unused:UNUSED_PAD src0_sel:WORD_1 src1_sel:WORD_1
	v_mul_f16_e32 v13, 0xb3a8, v12
	v_fma_f16 v60, v17, s17, -v13
	v_add_f16_e32 v85, v85, v89
	v_add_f16_e32 v22, v60, v22
	v_mul_f16_e32 v60, 0xb3a8, v59
	v_fma_f16 v13, v17, s17, v13
	v_add_f16_e32 v81, v81, v85
	v_add_f16_e32 v20, v13, v20
	v_fma_f16 v13, v19, s17, -v60
	v_add_f16_e32 v63, v63, v81
	v_add_f16_e32 v21, v13, v21
	v_mul_f16_e32 v13, 0x3770, v12
	v_add_f16_e32 v56, v56, v63
	v_fma_f16 v63, v19, s17, v60
	v_fma_f16 v60, v17, s6, -v13
	v_add_f16_e32 v44, v60, v44
	v_mul_f16_e32 v60, 0x3770, v59
	v_fma_f16 v13, v17, s6, v13
	v_add_f16_e32 v23, v13, v23
	v_fma_f16 v13, v19, s6, -v60
	v_add_f16_e32 v88, v91, v88
	v_add_f16_e32 v58, v58, v64
	;; [unrolled: 1-line block ×3, first 2 shown]
	v_mul_f16_e32 v13, 0xb94e, v12
	v_add_f16_e32 v84, v84, v88
	v_fma_f16 v45, v17, s15, -v13
	v_add_f16_e32 v65, v65, v84
	v_add_f16_e32 v49, v63, v49
	v_fma_f16 v63, v19, s6, v60
	v_add_f16_e32 v60, v45, v47
	v_mul_f16_e32 v45, 0xb94e, v59
	v_fma_f16 v13, v17, s15, v13
	v_add_f16_e32 v87, v87, v90
	v_add_f16_e32 v61, v61, v65
	;; [unrolled: 1-line block ×3, first 2 shown]
	v_fma_f16 v13, v19, s15, -v45
	v_add_f16_e32 v83, v83, v87
	v_add_f16_e32 v81, v13, v46
	v_mul_f16_e32 v13, 0x3a95, v12
	v_add_f16_e32 v80, v80, v83
	v_fma_f16 v47, v19, s15, v45
	v_fma_f16 v18, v17, s7, -v13
	v_mul_f16_e32 v45, 0x3a95, v59
	v_fma_f16 v13, v17, s7, v13
	v_add_f16_e32 v62, v62, v80
	v_add_f16_e32 v80, v13, v48
	v_fma_f16 v13, v19, s7, -v45
	v_add_f16_e32 v82, v13, v50
	v_mul_f16_e32 v13, 0xbb7b, v12
	v_fma_f16 v46, v19, s7, v45
	v_fma_f16 v45, v17, s16, -v13
	v_add_f16_e32 v50, v45, v54
	v_mul_f16_e32 v45, 0xbb7b, v59
	v_fma_f16 v13, v17, s16, v13
	v_add_f16_e32 v52, v13, v52
	v_fma_f16 v13, v19, s16, -v45
	v_mul_f16_e32 v12, 0x3bf1, v12
	v_add_f16_e32 v57, v46, v57
	v_fma_f16 v46, v19, s16, v45
	v_add_f16_e32 v56, v13, v56
	v_fma_f16 v13, v17, s14, -v12
	v_add_f16_e32 v54, v46, v61
	v_add_f16_e32 v61, v13, v58
	v_mul_f16_e32 v13, 0x3bf1, v59
	v_fma_f16 v12, v17, s14, v12
	v_add_f16_e32 v55, v47, v55
	v_fma_f16 v45, v19, s14, v13
	v_add_f16_e32 v17, v12, v16
	v_fma_f16 v12, v19, s14, -v13
	v_sub_f16_e32 v47, v30, v35
	v_add_f16_e32 v59, v45, v62
	v_add_f16_e32 v19, v12, v14
	;; [unrolled: 1-line block ×3, first 2 shown]
	v_mul_f16_e32 v45, 0xb770, v47
	v_fma_f16 v16, v12, s6, v45
	v_sub_f16_e32 v48, v1, v42
	v_pack_b32_f16 v14, v22, v49
	v_add_f16_e32 v22, v16, v0
	v_mul_lo_u16_e32 v16, 13, v36
	v_add_f16_e32 v13, v35, v30
	v_mul_f16_e32 v46, 0xb770, v48
	v_pack_b32_f16 v15, v15, v43
	v_lshl_add_u32 v84, v16, 2, v79
	v_add_f16_e32 v53, v63, v53
	s_waitcnt lgkmcnt(0)
	; wave barrier
	ds_write2_b32 v84, v15, v14 offset1:1
	v_fma_f16 v14, v13, s6, -v46
	v_pack_b32_f16 v43, v60, v55
	v_sub_f16_e32 v55, v29, v34
	v_add_f16_sdwa v15, v14, v0 dst_sel:DWORD dst_unused:UNUSED_PAD src0_sel:DWORD src1_sel:WORD_1
	v_add_f16_e32 v14, v7, v10
	v_pack_b32_f16 v44, v44, v53
	v_mul_f16_e32 v49, 0xba95, v55
	v_sub_f16_e32 v60, v10, v7
	v_add_f16_e32 v18, v18, v51
	v_add_f16_e32 v16, v34, v29
	ds_write2_b32 v84, v44, v43 offset0:2 offset1:3
	v_fma_f16 v43, v14, s7, v49
	v_mul_f16_e32 v51, 0xba95, v60
	v_add_f16_e32 v22, v43, v22
	v_fma_f16 v43, v16, s7, -v51
	v_sub_f16_e32 v58, v28, v33
	v_add_f16_e32 v43, v43, v15
	v_pack_b32_f16 v44, v50, v54
	v_pack_b32_f16 v18, v18, v57
	v_add_f16_e32 v15, v6, v11
	v_sub_f16_e32 v63, v11, v6
	v_pack_b32_f16 v17, v17, v19
	v_pack_b32_f16 v19, v61, v59
	v_mul_f16_e32 v50, 0xbbf1, v58
	ds_write2_b32 v84, v18, v44 offset0:4 offset1:5
	v_add_f16_e32 v18, v33, v28
	ds_write2_b32 v84, v19, v17 offset0:6 offset1:7
	v_mul_f16_e32 v54, 0xbbf1, v63
	v_fma_f16 v17, v15, s14, v50
	v_add_f16_e32 v19, v17, v22
	v_fma_f16 v17, v18, s14, -v54
	v_pack_b32_f16 v44, v80, v82
	v_pack_b32_f16 v52, v52, v56
	v_sub_f16_e32 v61, v27, v32
	v_add_f16_e32 v43, v17, v43
	v_add_f16_e32 v17, v5, v8
	ds_write2_b32 v84, v52, v44 offset0:8 offset1:9
	v_mul_f16_e32 v52, 0xbb7b, v61
	v_sub_f16_e32 v80, v8, v5
	v_add_f16_e32 v22, v32, v27
	v_fma_f16 v44, v17, s16, v52
	v_mul_f16_e32 v57, 0xbb7b, v80
	v_add_f16_e32 v44, v44, v19
	v_fma_f16 v19, v22, s16, -v57
	v_pack_b32_f16 v23, v23, v64
	v_sub_f16_e32 v64, v26, v31
	v_add_f16_e32 v56, v19, v43
	v_pack_b32_f16 v43, v65, v81
	v_add_f16_e32 v19, v4, v9
	v_mul_f16_e32 v53, 0xb94e, v64
	v_sub_f16_e32 v85, v9, v4
	ds_write2_b32 v84, v43, v23 offset0:10 offset1:11
	v_fma_f16 v23, v19, s15, v53
	v_add_f16_e32 v43, v31, v26
	v_mul_f16_e32 v59, 0xb94e, v85
	v_add_f16_e32 v44, v23, v44
	v_fma_f16 v23, v43, s15, -v59
	v_sub_f16_e32 v65, v24, v25
	v_add_f16_e32 v81, v23, v56
	v_add_f16_e32 v23, v3, v2
	v_mul_f16_e32 v56, 0xb3a8, v65
	v_fma_f16 v62, v23, s17, v56
	v_sub_f16_e32 v86, v2, v3
	v_add_f16_e32 v83, v62, v44
	v_add_f16_e32 v44, v25, v24
	v_mul_f16_e32 v62, 0xb3a8, v86
	v_pack_b32_f16 v20, v20, v21
	v_fma_f16 v82, v44, s17, -v62
	ds_write_b32 v84, v20 offset:48
	v_lshl_add_u64 v[20:21], v[36:37], 0, 13
	v_add_f16_e32 v82, v82, v81
	v_mul_u32_u24_e32 v81, 13, v20
	s_and_saveexec_b64 s[4:5], vcc
	s_cbranch_execz .LBB0_7
; %bb.6:
	v_mul_f16_e32 v21, 0xb3a8, v48
	v_fma_f16 v87, v13, s17, v21
	v_mul_f16_e32 v88, 0x3770, v60
	v_add_f16_sdwa v87, v87, v0 dst_sel:DWORD dst_unused:UNUSED_PAD src0_sel:DWORD src1_sel:WORD_1
	v_fma_f16 v89, v16, s6, v88
	v_add_f16_e32 v87, v89, v87
	v_mul_f16_e32 v89, 0xb94e, v63
	v_fma_f16 v90, v18, s15, v89
	v_add_f16_e32 v87, v90, v87
	v_mul_f16_e32 v90, 0x3a95, v80
	;; [unrolled: 3-line block ×5, first 2 shown]
	v_fma_f16 v94, v12, s17, -v93
	v_mul_f16_e32 v95, 0x3770, v55
	v_add_f16_e32 v94, v94, v0
	v_fma_f16 v96, v14, s6, -v95
	v_add_f16_e32 v94, v96, v94
	v_mul_f16_e32 v96, 0xb94e, v58
	v_fma_f16 v97, v15, s15, -v96
	v_add_f16_e32 v94, v97, v94
	v_mul_f16_e32 v97, 0x3a95, v61
	;; [unrolled: 3-line block ×5, first 2 shown]
	v_fma_f16 v101, v13, s15, v100
	v_mul_f16_e32 v102, 0x3bf1, v60
	v_add_f16_sdwa v101, v101, v0 dst_sel:DWORD dst_unused:UNUSED_PAD src0_sel:DWORD src1_sel:WORD_1
	v_fma_f16 v103, v16, s14, v102
	v_add_f16_e32 v101, v103, v101
	v_mul_f16_e32 v103, 0xba95, v63
	v_fma_f16 v104, v18, s7, v103
	v_add_f16_e32 v101, v104, v101
	v_mul_f16_e32 v104, 0x33a8, v80
	v_fma_f16 v105, v22, s17, v104
	v_add_f16_e32 v101, v105, v101
	v_mul_f16_e32 v105, 0x3770, v85
	v_fma_f16 v106, v43, s6, v105
	v_add_f16_e32 v101, v106, v101
	v_mul_f16_e32 v106, 0xbb7b, v86
	v_fma_f16 v107, v44, s16, v106
	v_add_f16_e32 v101, v107, v101
	v_mul_f16_e32 v107, 0xb94e, v47
	v_fma_f16 v108, v12, s15, -v107
	v_mul_f16_e32 v109, 0x3bf1, v55
	v_add_f16_e32 v108, v108, v0
	v_fma_f16 v110, v14, s14, -v109
	v_add_f16_e32 v1, v1, v0
	v_add_f16_e32 v108, v110, v108
	v_mul_f16_e32 v110, 0xba95, v58
	v_add_f16_e32 v1, v10, v1
	v_fma_f16 v111, v15, s7, -v110
	v_add_f16_e32 v1, v11, v1
	v_add_f16_e32 v108, v111, v108
	v_mul_f16_e32 v111, 0x33a8, v61
	v_add_f16_e32 v1, v8, v1
	v_fma_f16 v112, v17, s17, -v111
	v_mul_f16_e32 v10, 0x3770, v64
	v_add_f16_e32 v1, v9, v1
	v_mul_f16_e32 v8, 0xbb7b, v48
	v_add_f16_e32 v108, v112, v108
	v_fma_f16 v11, v19, s6, -v10
	v_fma_f16 v9, v13, s16, v8
	v_add_f16_e32 v1, v2, v1
	v_mul_f16_e32 v2, 0x394e, v60
	v_add_f16_e32 v11, v11, v108
	v_mul_f16_e32 v108, 0xbb7b, v65
	v_add_f16_sdwa v9, v9, v0 dst_sel:DWORD dst_unused:UNUSED_PAD src0_sel:DWORD src1_sel:WORD_1
	v_add_f16_e32 v1, v3, v1
	v_fma_f16 v3, v16, s15, v2
	v_fma_f16 v112, v23, s16, -v108
	v_add_f16_e32 v3, v3, v9
	v_mul_f16_e32 v9, 0x3770, v63
	v_add_f16_e32 v11, v112, v11
	v_fma_f16 v112, v18, s6, v9
	v_add_f16_e32 v1, v4, v1
	v_mul_f16_e32 v4, 0xbbf1, v80
	v_add_f16_e32 v3, v112, v3
	v_add_f16_e32 v1, v5, v1
	v_fma_f16 v5, v22, s14, v4
	v_add_f16_e32 v3, v5, v3
	v_mul_f16_e32 v5, 0x33a8, v85
	v_fma_f16 v112, v43, s17, v5
	v_add_f16_e32 v1, v6, v1
	v_mul_f16_e32 v6, 0x3a95, v86
	v_add_f16_e32 v3, v112, v3
	v_add_f16_e32 v1, v7, v1
	v_fma_f16 v7, v44, s7, v6
	v_add_f16_e32 v3, v7, v3
	v_mul_f16_e32 v7, 0xbb7b, v47
	v_fma_f16 v112, v12, s16, -v7
	v_mul_f16_e32 v113, 0x394e, v55
	v_add_f16_e32 v112, v112, v0
	v_fma_f16 v114, v14, s15, -v113
	v_add_f16_e32 v112, v114, v112
	v_mul_f16_e32 v114, 0x3770, v58
	v_fma_f16 v115, v15, s6, -v114
	v_add_f16_e32 v112, v115, v112
	v_mul_f16_e32 v115, 0xbbf1, v61
	;; [unrolled: 3-line block ×5, first 2 shown]
	v_fma_f16 v119, v13, s14, v118
	v_mul_f16_e32 v120, 0xb3a8, v60
	v_add_f16_sdwa v119, v119, v0 dst_sel:DWORD dst_unused:UNUSED_PAD src0_sel:DWORD src1_sel:WORD_1
	v_fma_f16 v121, v16, s17, v120
	v_add_f16_e32 v119, v121, v119
	v_mul_f16_e32 v121, 0x3b7b, v63
	v_fma_f16 v122, v18, s16, v121
	v_add_f16_e32 v119, v122, v119
	v_mul_f16_e32 v122, 0x3770, v80
	;; [unrolled: 3-line block ×5, first 2 shown]
	v_fma_f16 v126, v12, s14, -v125
	v_mul_f16_e32 v127, 0xb3a8, v55
	v_add_f16_e32 v126, v126, v0
	v_fma_f16 v128, v14, s17, -v127
	v_add_f16_e32 v126, v128, v126
	v_mul_f16_e32 v128, 0x3b7b, v58
	v_fma_f16 v129, v15, s16, -v128
	v_add_f16_e32 v126, v129, v126
	v_mul_f16_e32 v129, 0x3770, v61
	;; [unrolled: 3-line block ×4, first 2 shown]
	v_fma_f16 v132, v23, s15, -v131
	v_mul_f16_e32 v48, 0xba95, v48
	v_fma_f16 v8, v13, s16, -v8
	v_add_f16_e32 v126, v132, v126
	v_fma_f16 v132, v13, s7, v48
	v_mul_f16_e32 v60, 0xbb7b, v60
	v_add_f16_sdwa v8, v8, v0 dst_sel:DWORD dst_unused:UNUSED_PAD src0_sel:DWORD src1_sel:WORD_1
	v_fma_f16 v2, v16, s15, -v2
	v_add_f16_sdwa v132, v132, v0 dst_sel:DWORD dst_unused:UNUSED_PAD src0_sel:DWORD src1_sel:WORD_1
	v_fma_f16 v133, v16, s16, v60
	v_mul_f16_e32 v63, 0xb3a8, v63
	v_add_f16_e32 v2, v2, v8
	v_fma_f16 v8, v18, s6, -v9
	v_add_f16_e32 v132, v133, v132
	v_fma_f16 v133, v18, s17, v63
	v_mul_f16_e32 v80, 0x394e, v80
	v_add_f16_e32 v2, v8, v2
	v_fma_f16 v4, v22, s14, -v4
	v_add_f16_e32 v132, v133, v132
	;; [unrolled: 5-line block ×4, first 2 shown]
	v_fma_f16 v133, v44, s6, v86
	v_mul_f16_e32 v47, 0xba95, v47
	v_add_f16_e32 v2, v4, v2
	v_fma_f16 v4, v12, s16, v7
	v_add_f16_e32 v132, v133, v132
	v_fma_f16 v133, v12, s7, -v47
	v_mul_f16_e32 v55, 0xbb7b, v55
	v_add_f16_sdwa v30, v30, v0 dst_sel:DWORD dst_unused:UNUSED_PAD src0_sel:DWORD src1_sel:WORD_1
	v_add_f16_e32 v4, v4, v0
	v_fma_f16 v5, v14, s15, v113
	v_add_f16_e32 v133, v133, v0
	v_fma_f16 v134, v14, s16, -v55
	v_mul_f16_e32 v58, 0xb3a8, v58
	v_add_f16_e32 v29, v29, v30
	v_add_f16_e32 v4, v5, v4
	v_fma_f16 v5, v15, s6, v114
	v_add_f16_e32 v133, v134, v133
	v_fma_f16 v134, v15, s17, -v58
	v_mul_f16_e32 v61, 0x394e, v61
	v_add_f16_e32 v28, v28, v29
	v_add_f16_e32 v4, v5, v4
	v_fma_f16 v5, v17, s14, v115
	v_add_f16_e32 v133, v134, v133
	v_fma_f16 v134, v17, s15, -v61
	v_mul_f16_e32 v64, 0x3bf1, v64
	v_add_f16_e32 v27, v27, v28
	v_add_f16_e32 v4, v5, v4
	v_fma_f16 v5, v19, s17, v116
	v_add_f16_e32 v133, v134, v133
	v_fma_f16 v134, v19, s14, -v64
	v_mul_f16_e32 v65, 0x3770, v65
	v_add_f16_e32 v26, v26, v27
	v_add_f16_e32 v4, v5, v4
	v_fma_f16 v5, v23, s7, v117
	v_add_f16_e32 v133, v134, v133
	v_fma_f16 v134, v23, s6, -v65
	v_add_f16_e32 v24, v24, v26
	v_fma_f16 v21, v13, s17, -v21
	;; [unrolled: 2-line block ×3, first 2 shown]
	v_add_f16_e32 v133, v134, v133
	v_mul_f16_e32 v134, 0x3b15, v13
	v_add_f16_e32 v24, v25, v24
	v_add_f16_sdwa v21, v21, v0 dst_sel:DWORD dst_unused:UNUSED_PAD src0_sel:DWORD src1_sel:WORD_1
	v_fma_f16 v25, v16, s6, -v88
	v_add_f16_sdwa v5, v5, v0 dst_sel:DWORD dst_unused:UNUSED_PAD src0_sel:DWORD src1_sel:WORD_1
	v_fma_f16 v6, v16, s17, -v120
	v_add_f16_e32 v46, v46, v134
	v_mul_f16_e32 v134, 0x388b, v16
	v_add_f16_e32 v21, v25, v21
	v_fma_f16 v25, v18, s15, -v89
	v_add_f16_e32 v5, v6, v5
	v_fma_f16 v6, v18, s16, -v121
	v_add_f16_e32 v51, v51, v134
	v_add_f16_sdwa v46, v46, v0 dst_sel:DWORD dst_unused:UNUSED_PAD src0_sel:DWORD src1_sel:WORD_1
	v_add_f16_e32 v21, v25, v21
	v_fma_f16 v25, v22, s7, -v90
	v_add_f16_e32 v5, v6, v5
	v_fma_f16 v6, v22, s6, -v122
	v_add_f16_e32 v46, v51, v46
	v_mul_f16_e32 v51, 0x2fb7, v18
	v_add_f16_e32 v21, v25, v21
	v_fma_f16 v25, v43, s16, -v91
	v_add_f16_e32 v5, v6, v5
	v_fma_f16 v6, v43, s7, -v123
	v_add_f16_e32 v51, v54, v51
	v_add_f16_e32 v21, v25, v21
	v_fma_f16 v25, v44, s14, -v92
	v_add_f16_e32 v5, v6, v5
	v_fma_f16 v6, v44, s15, -v124
	v_add_f16_e32 v46, v51, v46
	v_mul_f16_e32 v51, 0xb5ac, v22
	v_add_f16_e32 v21, v25, v21
	v_fma_f16 v25, v12, s17, v93
	v_add_f16_e32 v5, v6, v5
	v_fma_f16 v6, v12, s14, v125
	v_add_f16_e32 v51, v57, v51
	v_add_f16_e32 v25, v25, v0
	v_fma_f16 v26, v14, s6, v95
	v_add_f16_e32 v6, v6, v0
	v_fma_f16 v7, v14, s17, v127
	v_add_f16_e32 v46, v51, v46
	v_mul_f16_e32 v51, 0xb9fd, v43
	v_add_f16_e32 v25, v26, v25
	v_fma_f16 v26, v15, s15, v96
	v_add_f16_e32 v6, v7, v6
	v_fma_f16 v7, v15, s16, v128
	v_add_f16_e32 v51, v59, v51
	v_add_f16_e32 v25, v26, v25
	v_fma_f16 v26, v17, s7, v97
	v_add_f16_e32 v6, v7, v6
	v_fma_f16 v7, v17, s6, v129
	;; [unrolled: 11-line block ×3, first 2 shown]
	v_add_f16_e32 v46, v51, v46
	v_mul_f16_e32 v51, 0x3b15, v12
	v_add_f16_e32 v25, v26, v25
	v_fma_f16 v26, v13, s15, -v100
	v_add_f16_e32 v6, v7, v6
	v_fma_f16 v7, v13, s7, -v48
	v_sub_f16_e32 v45, v51, v45
	v_mul_f16_e32 v51, 0x388b, v14
	v_add_f16_sdwa v26, v26, v0 dst_sel:DWORD dst_unused:UNUSED_PAD src0_sel:DWORD src1_sel:WORD_1
	v_fma_f16 v27, v16, s14, -v102
	v_add_f16_sdwa v7, v7, v0 dst_sel:DWORD dst_unused:UNUSED_PAD src0_sel:DWORD src1_sel:WORD_1
	v_fma_f16 v8, v16, s16, -v60
	v_sub_f16_e32 v49, v51, v49
	v_add_f16_e32 v45, v45, v0
	v_add_f16_e32 v26, v27, v26
	v_fma_f16 v27, v18, s7, -v103
	v_add_f16_e32 v7, v8, v7
	v_fma_f16 v8, v18, s17, -v63
	v_add_f16_e32 v45, v49, v45
	v_mul_f16_e32 v49, 0x2fb7, v15
	v_add_f16_e32 v26, v27, v26
	v_fma_f16 v27, v22, s17, -v104
	v_add_f16_e32 v7, v8, v7
	v_fma_f16 v8, v22, s15, -v80
	v_sub_f16_e32 v49, v49, v50
	v_add_f16_e32 v26, v27, v26
	v_fma_f16 v27, v43, s6, -v105
	v_add_f16_e32 v7, v8, v7
	v_fma_f16 v8, v43, s14, -v85
	v_add_f16_e32 v45, v49, v45
	v_mul_f16_e32 v49, 0xb5ac, v17
	v_add_f16_e32 v26, v27, v26
	v_fma_f16 v27, v44, s16, -v106
	v_add_f16_e32 v7, v8, v7
	v_fma_f16 v8, v44, s6, -v86
	v_sub_f16_e32 v49, v49, v52
	v_add_f16_e32 v26, v27, v26
	v_fma_f16 v27, v12, s15, v107
	v_add_f16_e32 v7, v8, v7
	v_fma_f16 v8, v12, s7, v47
	v_add_f16_e32 v45, v49, v45
	v_mul_f16_e32 v49, 0xb9fd, v19
	v_add_f16_e32 v24, v31, v24
	v_add_f16_e32 v27, v27, v0
	;; [unrolled: 1-line block ×3, first 2 shown]
	v_fma_f16 v8, v14, s16, v55
	v_sub_f16_e32 v49, v49, v53
	v_add_f16_e32 v24, v32, v24
	v_add_f16_e32 v0, v8, v0
	v_fma_f16 v8, v15, s17, v58
	v_add_f16_e32 v45, v49, v45
	v_mul_f16_e32 v49, 0xbbc4, v23
	v_add_f16_e32 v24, v33, v24
	v_add_f16_e32 v0, v8, v0
	v_fma_f16 v8, v17, s15, v61
	v_sub_f16_e32 v49, v49, v56
	v_add_f16_e32 v24, v34, v24
	v_fma_f16 v28, v14, s14, v109
	v_add_f16_e32 v0, v8, v0
	v_fma_f16 v8, v19, s14, v64
	v_add_f16_e32 v45, v49, v45
	v_add_f16_e32 v1, v42, v1
	v_add_f16_e32 v24, v35, v24
	v_add_f16_e32 v27, v28, v27
	v_fma_f16 v28, v15, s7, v110
	v_add_f16_e32 v0, v8, v0
	v_fma_f16 v8, v23, s6, v65
	v_add_f16_e32 v27, v28, v27
	;; [unrolled: 2-line block ×3, first 2 shown]
	v_lshl_add_u32 v8, v81, 2, v79
	v_pack_b32_f16 v9, v45, v46
	v_pack_b32_f16 v1, v1, v24
	v_add_f16_e32 v27, v28, v27
	v_fma_f16 v10, v19, s6, v10
	ds_write2_b32 v8, v1, v9 offset1:1
	v_pack_b32_f16 v1, v126, v119
	v_pack_b32_f16 v9, v133, v132
	v_add_f16_e32 v10, v10, v27
	v_fma_f16 v27, v23, s16, v108
	ds_write2_b32 v8, v9, v1 offset0:2 offset1:3
	v_pack_b32_f16 v1, v11, v101
	v_pack_b32_f16 v3, v112, v3
	v_add_f16_e32 v10, v27, v10
	ds_write2_b32 v8, v3, v1 offset0:4 offset1:5
	v_pack_b32_f16 v1, v25, v21
	v_pack_b32_f16 v3, v94, v87
	ds_write2_b32 v8, v3, v1 offset0:6 offset1:7
	v_pack_b32_f16 v1, v4, v2
	v_pack_b32_f16 v2, v10, v26
	;; [unrolled: 3-line block ×3, first 2 shown]
	s_mov_b32 s6, 0x5040100
	ds_write2_b32 v8, v1, v0 offset0:10 offset1:11
	v_perm_b32 v0, v82, v83, s6
	ds_write_b32 v8, v0 offset:48
.LBB0_7:
	s_or_b64 exec, exec, s[4:5]
	v_lshlrev_b32_e32 v21, 4, v36
	s_waitcnt lgkmcnt(0)
	; wave barrier
	s_waitcnt lgkmcnt(0)
	global_load_dwordx4 v[0:3], v21, s[0:1]
	v_lshl_add_u64 v[24:25], v[36:37], 0, 26
	s_movk_i32 s4, 0x4f
	v_mul_lo_u16_sdwa v4, v24, s4 dst_sel:DWORD dst_unused:UNUSED_PAD src0_sel:BYTE_0 src1_sel:DWORD
	v_lshrrev_b16_e32 v4, 10, v4
	v_mul_lo_u16_e32 v4, 13, v4
	v_sub_u16_e32 v25, v24, v4
	v_lshlrev_b16_e32 v4, 2, v25
	v_and_b32_e32 v4, 0xfc, v4
	v_lshlrev_b32_e32 v4, 2, v4
	ds_read2_b32 v[22:23], v41 offset1:13
	ds_read2_b32 v[16:17], v41 offset0:52 offset1:65
	ds_read2_b32 v[26:27], v41 offset0:130 offset1:143
	;; [unrolled: 1-line block ×7, first 2 shown]
	v_lshl_add_u64 v[28:29], v[36:37], 0, 39
	global_load_dwordx4 v[4:7], v4, s[0:1]
	v_mul_lo_u16_sdwa v8, v28, s4 dst_sel:DWORD dst_unused:UNUSED_PAD src0_sel:BYTE_0 src1_sel:DWORD
	v_lshrrev_b16_e32 v8, 10, v8
	v_lshl_add_u64 v[32:33], v[36:37], 0, 52
	v_mul_lo_u16_e32 v8, 13, v8
	v_sub_u16_e32 v33, v28, v8
	v_lshlrev_b16_e32 v8, 2, v33
	v_and_b32_e32 v8, 0xfc, v8
	v_mul_lo_u16_sdwa v9, v32, s4 dst_sel:DWORD dst_unused:UNUSED_PAD src0_sel:BYTE_0 src1_sel:DWORD
	v_lshlrev_b32_e32 v8, 2, v8
	v_add_u32_e32 v56, 0x400, v41
	ds_read2_b32 v[46:47], v41 offset0:104 offset1:117
	ds_read2_b32 v[48:49], v41 offset0:234 offset1:247
	ds_read_b32 v29, v41 offset:1248
	ds_read2_b32 v[50:51], v56 offset0:4 offset1:17
	ds_read2_b32 v[52:53], v56 offset0:30 offset1:43
	v_lshrrev_b16_e32 v12, 10, v9
	global_load_dwordx4 v[8:11], v8, s[0:1]
	v_mul_lo_u16_e32 v12, 13, v12
	v_sub_u16_e32 v37, v32, v12
	v_lshlrev_b16_e32 v12, 2, v37
	v_and_b32_e32 v12, 0xfc, v12
	v_lshlrev_b32_e32 v12, 2, v12
	global_load_dwordx4 v[12:15], v12, s[0:1]
	s_waitcnt lgkmcnt(11)
	v_lshrrev_b32_e32 v55, 16, v17
	s_waitcnt lgkmcnt(1)
	v_lshrrev_b32_e32 v94, 16, v50
	v_lshrrev_b32_e32 v60, 16, v34
	;; [unrolled: 1-line block ×8, first 2 shown]
	s_waitcnt lgkmcnt(0)
	v_lshrrev_b32_e32 v96, 16, v52
	v_lshrrev_b32_e32 v86, 16, v46
	;; [unrolled: 1-line block ×10, first 2 shown]
	s_movk_i32 s5, 0x3b9c
	s_mov_b32 s7, 0xbb9c
	v_lshrrev_b32_e32 v93, 16, v29
	s_movk_i32 s4, 0x38b4
	s_mov_b32 s14, 0xb8b4
	s_movk_i32 s6, 0x34f2
	v_lshrrev_b32_e32 v54, 16, v22
	v_lshrrev_b32_e32 v59, 16, v23
	;; [unrolled: 1-line block ×5, first 2 shown]
	s_waitcnt lgkmcnt(0)
	; wave barrier
	v_lshlrev_b32_e32 v20, 4, v20
	v_lshlrev_b32_e32 v24, 4, v24
	;; [unrolled: 1-line block ×4, first 2 shown]
	s_waitcnt vmcnt(3)
	v_mul_f16_sdwa v98, v55, v0 dst_sel:DWORD dst_unused:UNUSED_PAD src0_sel:DWORD src1_sel:WORD_1
	v_mul_f16_sdwa v99, v17, v0 dst_sel:DWORD dst_unused:UNUSED_PAD src0_sel:DWORD src1_sel:WORD_1
	v_fma_f16 v17, v17, v0, -v98
	v_mul_f16_sdwa v98, v94, v3 dst_sel:DWORD dst_unused:UNUSED_PAD src0_sel:DWORD src1_sel:WORD_1
	v_fma_f16 v98, v50, v3, -v98
	v_mul_f16_sdwa v50, v50, v3 dst_sel:DWORD dst_unused:UNUSED_PAD src0_sel:DWORD src1_sel:WORD_1
	v_fma_f16 v50, v94, v3, v50
	v_mul_f16_sdwa v94, v60, v0 dst_sel:DWORD dst_unused:UNUSED_PAD src0_sel:DWORD src1_sel:WORD_1
	v_fma_f16 v94, v34, v0, -v94
	v_mul_f16_sdwa v34, v34, v0 dst_sel:DWORD dst_unused:UNUSED_PAD src0_sel:DWORD src1_sel:WORD_1
	v_fma_f16 v34, v60, v0, v34
	;; [unrolled: 4-line block ×5, first 2 shown]
	s_waitcnt vmcnt(2)
	v_mul_f16_sdwa v95, v64, v4 dst_sel:DWORD dst_unused:UNUSED_PAD src0_sel:DWORD src1_sel:WORD_1
	v_fma_f16 v95, v35, v4, -v95
	v_mul_f16_sdwa v35, v35, v4 dst_sel:DWORD dst_unused:UNUSED_PAD src0_sel:DWORD src1_sel:WORD_1
	v_fma_f16 v35, v64, v4, v35
	v_mul_f16_sdwa v64, v65, v5 dst_sel:DWORD dst_unused:UNUSED_PAD src0_sel:DWORD src1_sel:WORD_1
	v_fma_f16 v64, v44, v5, -v64
	v_mul_f16_sdwa v44, v44, v5 dst_sel:DWORD dst_unused:UNUSED_PAD src0_sel:DWORD src1_sel:WORD_1
	v_fma_f16 v44, v65, v5, v44
	;; [unrolled: 4-line block ×4, first 2 shown]
	s_waitcnt vmcnt(1)
	v_mul_f16_sdwa v96, v86, v8 dst_sel:DWORD dst_unused:UNUSED_PAD src0_sel:DWORD src1_sel:WORD_1
	v_fma_f16 v96, v46, v8, -v96
	v_mul_f16_sdwa v46, v46, v8 dst_sel:DWORD dst_unused:UNUSED_PAD src0_sel:DWORD src1_sel:WORD_1
	v_fma_f16 v46, v86, v8, v46
	v_mul_f16_sdwa v86, v87, v9 dst_sel:DWORD dst_unused:UNUSED_PAD src0_sel:DWORD src1_sel:WORD_1
	v_fma_f16 v86, v45, v9, -v86
	v_mul_f16_sdwa v45, v45, v9 dst_sel:DWORD dst_unused:UNUSED_PAD src0_sel:DWORD src1_sel:WORD_1
	v_fma_f16 v45, v87, v9, v45
	;; [unrolled: 4-line block ×4, first 2 shown]
	s_waitcnt vmcnt(0)
	v_mul_f16_sdwa v97, v90, v12 dst_sel:DWORD dst_unused:UNUSED_PAD src0_sel:DWORD src1_sel:WORD_1
	v_mul_f16_sdwa v100, v57, v1 dst_sel:DWORD dst_unused:UNUSED_PAD src0_sel:DWORD src1_sel:WORD_1
	;; [unrolled: 1-line block ×3, first 2 shown]
	v_fma_f16 v97, v47, v12, -v97
	v_mul_f16_sdwa v47, v47, v12 dst_sel:DWORD dst_unused:UNUSED_PAD src0_sel:DWORD src1_sel:WORD_1
	v_mul_f16_sdwa v101, v26, v1 dst_sel:DWORD dst_unused:UNUSED_PAD src0_sel:DWORD src1_sel:WORD_1
	;; [unrolled: 1-line block ×3, first 2 shown]
	v_fma_f16 v26, v26, v1, -v100
	v_fma_f16 v31, v31, v2, -v102
	v_fma_f16 v47, v90, v12, v47
	v_mul_f16_sdwa v90, v91, v13 dst_sel:DWORD dst_unused:UNUSED_PAD src0_sel:DWORD src1_sel:WORD_1
	v_fma_f16 v55, v55, v0, v99
	v_fma_f16 v90, v30, v13, -v90
	v_mul_f16_sdwa v30, v30, v13 dst_sel:DWORD dst_unused:UNUSED_PAD src0_sel:DWORD src1_sel:WORD_1
	v_add_f16_e32 v99, v26, v31
	v_fma_f16 v57, v57, v1, v101
	v_fma_f16 v58, v58, v2, v103
	;; [unrolled: 1-line block ×3, first 2 shown]
	v_mul_f16_sdwa v91, v92, v14 dst_sel:DWORD dst_unused:UNUSED_PAD src0_sel:DWORD src1_sel:WORD_1
	v_fma_f16 v99, v99, -0.5, v22
	v_sub_f16_e32 v100, v55, v50
	v_fma_f16 v91, v49, v14, -v91
	v_mul_f16_sdwa v49, v49, v14 dst_sel:DWORD dst_unused:UNUSED_PAD src0_sel:DWORD src1_sel:WORD_1
	v_fma_f16 v101, v100, s5, v99
	v_sub_f16_e32 v102, v57, v58
	v_sub_f16_e32 v103, v17, v26
	;; [unrolled: 1-line block ×3, first 2 shown]
	v_fma_f16 v99, v100, s7, v99
	v_fma_f16 v49, v92, v14, v49
	v_mul_f16_sdwa v92, v93, v15 dst_sel:DWORD dst_unused:UNUSED_PAD src0_sel:DWORD src1_sel:WORD_1
	v_fma_f16 v101, v102, s4, v101
	v_add_f16_e32 v103, v103, v104
	v_fma_f16 v99, v102, s14, v99
	v_fma_f16 v92, v29, v15, -v92
	v_mul_f16_sdwa v29, v29, v15 dst_sel:DWORD dst_unused:UNUSED_PAD src0_sel:DWORD src1_sel:WORD_1
	v_fma_f16 v101, v103, s6, v101
	v_fma_f16 v99, v103, s6, v99
	v_add_f16_e32 v103, v17, v98
	v_fma_f16 v29, v93, v15, v29
	v_add_f16_e32 v93, v22, v17
	v_fma_f16 v22, v103, -0.5, v22
	v_add_f16_e32 v93, v93, v26
	v_fma_f16 v103, v102, s7, v22
	v_fma_f16 v22, v102, s5, v22
	v_add_f16_e32 v102, v57, v58
	v_add_f16_e32 v93, v93, v31
	v_sub_f16_e32 v104, v26, v17
	v_sub_f16_e32 v105, v31, v98
	v_fma_f16 v102, v102, -0.5, v54
	v_sub_f16_e32 v17, v17, v98
	v_add_f16_e32 v93, v93, v98
	v_fma_f16 v103, v100, s4, v103
	v_add_f16_e32 v104, v104, v105
	v_fma_f16 v22, v100, s14, v22
	v_fma_f16 v98, v17, s7, v102
	v_sub_f16_e32 v26, v26, v31
	v_fma_f16 v103, v104, s6, v103
	v_fma_f16 v22, v104, s6, v22
	;; [unrolled: 1-line block ×3, first 2 shown]
	v_sub_f16_e32 v98, v55, v57
	v_sub_f16_e32 v104, v50, v58
	v_fma_f16 v102, v17, s5, v102
	v_add_f16_e32 v100, v54, v55
	v_add_f16_e32 v98, v98, v104
	v_fma_f16 v102, v26, s4, v102
	v_add_f16_e32 v100, v100, v57
	v_fma_f16 v31, v98, s6, v31
	v_fma_f16 v98, v98, s6, v102
	v_add_f16_e32 v102, v55, v50
	v_add_f16_e32 v100, v100, v58
	v_fma_f16 v54, v102, -0.5, v54
	v_add_f16_e32 v100, v100, v50
	v_fma_f16 v102, v26, s5, v54
	v_sub_f16_e32 v55, v57, v55
	v_sub_f16_e32 v50, v58, v50
	v_fma_f16 v26, v26, s7, v54
	v_fma_f16 v102, v17, s14, v102
	v_add_f16_e32 v50, v55, v50
	v_fma_f16 v17, v17, s4, v26
	v_fma_f16 v55, v50, s6, v102
	v_fma_f16 v17, v50, s6, v17
	v_add_f16_e32 v50, v60, v61
	v_fma_f16 v50, v50, -0.5, v23
	v_sub_f16_e32 v54, v34, v51
	v_fma_f16 v57, v54, s5, v50
	v_sub_f16_e32 v58, v27, v42
	v_sub_f16_e32 v102, v94, v60
	;; [unrolled: 1-line block ×3, first 2 shown]
	v_fma_f16 v50, v54, s7, v50
	v_fma_f16 v57, v58, s4, v57
	v_add_f16_e32 v102, v102, v104
	v_fma_f16 v50, v58, s14, v50
	v_add_f16_e32 v26, v23, v94
	v_fma_f16 v57, v102, s6, v57
	v_fma_f16 v50, v102, s6, v50
	v_add_f16_e32 v102, v94, v62
	v_add_f16_e32 v26, v26, v60
	v_fma_f16 v23, v102, -0.5, v23
	v_add_f16_e32 v26, v26, v61
	v_fma_f16 v102, v58, s7, v23
	v_fma_f16 v23, v58, s5, v23
	v_add_f16_e32 v58, v27, v42
	v_add_f16_e32 v26, v26, v62
	v_sub_f16_e32 v104, v60, v94
	v_sub_f16_e32 v105, v61, v62
	v_fma_f16 v58, v58, -0.5, v59
	v_sub_f16_e32 v62, v94, v62
	v_fma_f16 v102, v54, s4, v102
	v_add_f16_e32 v104, v104, v105
	v_fma_f16 v23, v54, s14, v23
	v_fma_f16 v94, v62, s7, v58
	v_sub_f16_e32 v60, v60, v61
	v_fma_f16 v102, v104, s6, v102
	v_fma_f16 v23, v104, s6, v23
	;; [unrolled: 1-line block ×3, first 2 shown]
	v_sub_f16_e32 v94, v34, v27
	v_sub_f16_e32 v104, v51, v42
	v_fma_f16 v58, v62, s5, v58
	v_add_f16_e32 v54, v59, v34
	v_add_f16_e32 v94, v94, v104
	v_fma_f16 v58, v60, s4, v58
	v_add_f16_e32 v54, v54, v27
	v_fma_f16 v61, v94, s6, v61
	v_fma_f16 v58, v94, s6, v58
	v_add_f16_e32 v94, v34, v51
	v_add_f16_e32 v54, v54, v42
	v_fma_f16 v59, v94, -0.5, v59
	v_add_f16_e32 v54, v54, v51
	v_fma_f16 v94, v60, s5, v59
	v_sub_f16_e32 v27, v27, v34
	v_sub_f16_e32 v34, v42, v51
	v_add_f16_e32 v51, v64, v65
	v_fma_f16 v94, v62, s14, v94
	v_add_f16_e32 v27, v27, v34
	v_fma_f16 v42, v60, s7, v59
	v_fma_f16 v51, v51, -0.5, v18
	v_sub_f16_e32 v59, v35, v52
	v_fma_f16 v34, v27, s6, v94
	v_fma_f16 v42, v62, s4, v42
	;; [unrolled: 1-line block ×3, first 2 shown]
	v_sub_f16_e32 v62, v44, v43
	v_sub_f16_e32 v94, v95, v64
	;; [unrolled: 1-line block ×3, first 2 shown]
	v_fma_f16 v51, v59, s7, v51
	v_fma_f16 v60, v62, s4, v60
	v_add_f16_e32 v94, v94, v104
	v_fma_f16 v51, v62, s14, v51
	v_fma_f16 v27, v27, s6, v42
	v_add_f16_e32 v42, v18, v95
	;; [unrolled: 3-line block ×3, first 2 shown]
	v_add_f16_e32 v42, v42, v64
	v_fma_f16 v18, v94, -0.5, v18
	v_add_f16_e32 v42, v42, v65
	v_fma_f16 v94, v62, s7, v18
	v_fma_f16 v18, v62, s5, v18
	v_add_f16_e32 v62, v44, v43
	v_add_f16_e32 v42, v42, v80
	v_sub_f16_e32 v104, v64, v95
	v_sub_f16_e32 v105, v65, v80
	v_fma_f16 v62, v62, -0.5, v63
	v_sub_f16_e32 v80, v95, v80
	v_fma_f16 v94, v59, s4, v94
	v_add_f16_e32 v104, v104, v105
	v_fma_f16 v18, v59, s14, v18
	v_fma_f16 v95, v80, s7, v62
	v_sub_f16_e32 v64, v64, v65
	v_fma_f16 v94, v104, s6, v94
	v_fma_f16 v18, v104, s6, v18
	;; [unrolled: 1-line block ×3, first 2 shown]
	v_sub_f16_e32 v95, v35, v44
	v_sub_f16_e32 v104, v52, v43
	v_fma_f16 v62, v80, s5, v62
	v_add_f16_e32 v59, v63, v35
	v_add_f16_e32 v95, v95, v104
	v_fma_f16 v62, v64, s4, v62
	v_add_f16_e32 v59, v59, v44
	v_fma_f16 v65, v95, s6, v65
	v_fma_f16 v62, v95, s6, v62
	v_add_f16_e32 v95, v35, v52
	v_add_f16_e32 v59, v59, v43
	v_fma_f16 v63, v95, -0.5, v63
	v_add_f16_e32 v59, v59, v52
	v_fma_f16 v95, v64, s5, v63
	v_sub_f16_e32 v35, v44, v35
	v_sub_f16_e32 v43, v43, v52
	v_add_f16_e32 v52, v86, v87
	v_fma_f16 v95, v80, s14, v95
	v_add_f16_e32 v35, v35, v43
	v_fma_f16 v44, v64, s7, v63
	v_fma_f16 v52, v52, -0.5, v19
	v_sub_f16_e32 v63, v46, v53
	v_fma_f16 v43, v35, s6, v95
	v_fma_f16 v44, v80, s4, v44
	;; [unrolled: 1-line block ×3, first 2 shown]
	v_sub_f16_e32 v80, v45, v48
	v_sub_f16_e32 v95, v96, v86
	;; [unrolled: 1-line block ×3, first 2 shown]
	v_fma_f16 v52, v63, s7, v52
	v_fma_f16 v64, v80, s4, v64
	v_add_f16_e32 v95, v95, v104
	v_fma_f16 v52, v80, s14, v52
	v_fma_f16 v35, v35, s6, v44
	v_add_f16_e32 v44, v19, v96
	;; [unrolled: 3-line block ×3, first 2 shown]
	v_add_f16_e32 v44, v44, v86
	v_fma_f16 v19, v95, -0.5, v19
	v_add_f16_e32 v44, v44, v87
	v_fma_f16 v95, v80, s7, v19
	v_fma_f16 v19, v80, s5, v19
	v_add_f16_e32 v80, v45, v48
	v_add_f16_e32 v44, v44, v88
	v_sub_f16_e32 v104, v86, v96
	v_sub_f16_e32 v105, v87, v88
	v_fma_f16 v80, v80, -0.5, v85
	v_sub_f16_e32 v88, v96, v88
	v_fma_f16 v95, v63, s4, v95
	v_add_f16_e32 v104, v104, v105
	v_fma_f16 v19, v63, s14, v19
	v_fma_f16 v96, v88, s7, v80
	v_sub_f16_e32 v86, v86, v87
	v_fma_f16 v95, v104, s6, v95
	v_fma_f16 v19, v104, s6, v19
	;; [unrolled: 1-line block ×3, first 2 shown]
	v_sub_f16_e32 v96, v46, v45
	v_sub_f16_e32 v104, v53, v48
	v_fma_f16 v80, v88, s5, v80
	v_add_f16_e32 v63, v85, v46
	v_add_f16_e32 v96, v96, v104
	v_fma_f16 v80, v86, s4, v80
	v_add_f16_e32 v63, v63, v45
	v_fma_f16 v87, v96, s6, v87
	v_fma_f16 v80, v96, s6, v80
	v_add_f16_e32 v96, v46, v53
	v_add_f16_e32 v63, v63, v48
	v_fma_f16 v85, v96, -0.5, v85
	v_add_f16_e32 v63, v63, v53
	v_fma_f16 v96, v86, s5, v85
	v_sub_f16_e32 v45, v45, v46
	v_sub_f16_e32 v46, v48, v53
	v_add_f16_e32 v53, v90, v91
	v_fma_f16 v96, v88, s14, v96
	v_add_f16_e32 v45, v45, v46
	v_fma_f16 v48, v86, s7, v85
	v_fma_f16 v53, v53, -0.5, v16
	v_sub_f16_e32 v85, v47, v29
	v_fma_f16 v46, v45, s6, v96
	v_fma_f16 v48, v88, s4, v48
	;; [unrolled: 1-line block ×3, first 2 shown]
	v_sub_f16_e32 v88, v30, v49
	v_sub_f16_e32 v96, v97, v90
	;; [unrolled: 1-line block ×3, first 2 shown]
	v_fma_f16 v86, v88, s4, v86
	v_add_f16_e32 v96, v96, v104
	v_fma_f16 v104, v96, s6, v86
	v_add_f16_e32 v86, v97, v92
	;; [unrolled: 2-line block ×3, first 2 shown]
	v_fma_f16 v16, v86, -0.5, v16
	v_fma_f16 v86, v88, s7, v16
	v_fma_f16 v16, v88, s5, v16
	;; [unrolled: 1-line block ×5, first 2 shown]
	v_add_f16_e32 v85, v89, v47
	v_fma_f16 v53, v88, s14, v53
	v_add_f16_e32 v85, v85, v30
	v_fma_f16 v53, v96, s6, v53
	v_sub_f16_e32 v96, v90, v97
	v_sub_f16_e32 v105, v91, v92
	v_add_f16_e32 v85, v85, v49
	v_add_f16_e32 v48, v48, v90
	;; [unrolled: 1-line block ×6, first 2 shown]
	v_fma_f16 v105, v96, s6, v86
	v_fma_f16 v85, v85, -0.5, v89
	v_sub_f16_e32 v86, v97, v92
	v_add_f16_e32 v48, v48, v92
	v_fma_f16 v92, v86, s7, v85
	v_sub_f16_e32 v90, v90, v91
	v_fma_f16 v16, v96, s6, v16
	v_fma_f16 v91, v90, s14, v92
	v_sub_f16_e32 v92, v47, v30
	v_sub_f16_e32 v96, v29, v49
	v_fma_f16 v85, v86, s5, v85
	v_add_f16_e32 v92, v92, v96
	v_fma_f16 v85, v90, s4, v85
	v_fma_f16 v91, v92, s6, v91
	;; [unrolled: 1-line block ×3, first 2 shown]
	v_add_f16_e32 v85, v47, v29
	v_fma_f16 v85, v85, -0.5, v89
	v_fma_f16 v89, v90, s5, v85
	v_sub_f16_e32 v30, v30, v47
	v_sub_f16_e32 v29, v49, v29
	v_fma_f16 v47, v90, s7, v85
	v_fma_f16 v89, v86, s14, v89
	v_add_f16_e32 v29, v30, v29
	v_fma_f16 v47, v86, s4, v47
	v_fma_f16 v30, v29, s6, v89
	;; [unrolled: 1-line block ×3, first 2 shown]
	v_pack_b32_f16 v47, v93, v100
	v_pack_b32_f16 v31, v101, v31
	ds_write2_b32 v41, v47, v31 offset1:13
	v_pack_b32_f16 v31, v103, v55
	v_pack_b32_f16 v17, v22, v17
	ds_write2_b32 v41, v31, v17 offset0:26 offset1:39
	v_pack_b32_f16 v17, v99, v98
	v_pack_b32_f16 v22, v26, v54
	ds_write2_b32 v41, v17, v22 offset0:52 offset1:65
	;; [unrolled: 3-line block ×4, first 2 shown]
	v_and_b32_e32 v17, 0xff, v25
	v_lshl_add_u32 v85, v17, 2, v79
	v_pack_b32_f16 v17, v42, v59
	v_pack_b32_f16 v22, v60, v65
	ds_write2_b32 v85, v17, v22 offset0:130 offset1:143
	v_pack_b32_f16 v17, v94, v43
	v_pack_b32_f16 v18, v18, v35
	ds_write2_b32 v85, v17, v18 offset0:156 offset1:169
	v_pack_b32_f16 v17, v51, v62
	ds_write_b32 v85, v17 offset:728
	v_and_b32_e32 v17, 0xff, v33
	v_lshl_add_u32 v86, v17, 2, v79
	v_pack_b32_f16 v17, v44, v63
	v_pack_b32_f16 v18, v64, v87
	ds_write2_b32 v86, v17, v18 offset0:195 offset1:208
	v_pack_b32_f16 v17, v95, v46
	v_pack_b32_f16 v18, v19, v45
	ds_write2_b32 v86, v17, v18 offset0:221 offset1:234
	v_pack_b32_f16 v17, v52, v80
	ds_write_b32 v86, v17 offset:988
	v_and_b32_e32 v17, 0xff, v37
	v_lshl_add_u32 v87, v17, 2, v79
	v_pack_b32_f16 v17, v48, v88
	v_pack_b32_f16 v18, v104, v91
	v_add_u32_e32 v19, 0x400, v87
	ds_write2_b32 v19, v17, v18 offset0:4 offset1:17
	v_pack_b32_f16 v17, v105, v30
	v_pack_b32_f16 v16, v16, v29
	ds_write2_b32 v19, v17, v16 offset0:30 offset1:43
	v_pack_b32_f16 v16, v53, v92
	ds_write_b32 v87, v16 offset:1248
	s_waitcnt lgkmcnt(0)
	; wave barrier
	s_waitcnt lgkmcnt(0)
	global_load_dwordx4 v[16:19], v21, s[0:1] offset:208
	s_nop 0
	global_load_dwordx4 v[20:23], v20, s[0:1] offset:208
	s_nop 0
	global_load_dwordx4 v[24:27], v24, s[0:1] offset:208
	ds_read2_b32 v[42:43], v41 offset1:13
	ds_read2_b32 v[52:53], v41 offset0:52 offset1:65
	ds_read2_b32 v[44:45], v41 offset0:130 offset1:143
	ds_read2_b32 v[48:49], v41 offset0:182 offset1:195
	ds_read2_b32 v[50:51], v56 offset0:4 offset1:17
	ds_read2_b32 v[54:55], v41 offset0:78 offset1:91
	global_load_dwordx4 v[28:31], v28, s[0:1] offset:208
	ds_read2_b32 v[58:59], v41 offset0:208 offset1:221
	global_load_dwordx4 v[32:35], v32, s[0:1] offset:208
	s_waitcnt lgkmcnt(5)
	v_lshrrev_b32_e32 v57, 16, v53
	s_waitcnt lgkmcnt(4)
	v_lshrrev_b32_e32 v80, 16, v44
	;; [unrolled: 2-line block ×5, first 2 shown]
	v_lshrrev_b32_e32 v94, 16, v45
	s_waitcnt lgkmcnt(0)
	v_lshrrev_b32_e32 v95, 16, v58
	ds_read2_b32 v[60:61], v41 offset0:156 offset1:169
	v_lshrrev_b32_e32 v96, 16, v51
	v_lshrrev_b32_e32 v98, 16, v55
	ds_read2_b32 v[62:63], v56 offset0:30 offset1:43
	ds_read2_b32 v[64:65], v41 offset0:104 offset1:117
	s_waitcnt lgkmcnt(2)
	v_lshrrev_b32_e32 v99, 16, v60
	v_lshrrev_b32_e32 v100, 16, v59
	ds_read2_b32 v[88:89], v41 offset0:234 offset1:247
	s_waitcnt lgkmcnt(2)
	v_lshrrev_b32_e32 v101, 16, v62
	s_waitcnt lgkmcnt(1)
	v_lshrrev_b32_e32 v103, 16, v64
	v_lshrrev_b32_e32 v104, 16, v61
	;; [unrolled: 1-line block ×3, first 2 shown]
	s_waitcnt lgkmcnt(0)
	v_lshrrev_b32_e32 v105, 16, v88
	v_lshrrev_b32_e32 v109, 16, v65
	ds_read_b32 v107, v41 offset:1248
	v_lshrrev_b32_e32 v110, 16, v48
	v_lshrrev_b32_e32 v111, 16, v89
	;; [unrolled: 1-line block ×4, first 2 shown]
	s_waitcnt lgkmcnt(0)
	v_lshrrev_b32_e32 v112, 16, v107
	ds_read2_b32 v[46:47], v41 offset0:26 offset1:39
	v_lshrrev_b32_e32 v108, 16, v52
	s_waitcnt lgkmcnt(0)
	v_lshrrev_b32_e32 v97, 16, v46
	v_lshrrev_b32_e32 v102, 16, v47
	s_waitcnt vmcnt(4)
	v_mul_f16_sdwa v113, v57, v16 dst_sel:DWORD dst_unused:UNUSED_PAD src0_sel:DWORD src1_sel:WORD_1
	v_fma_f16 v113, v53, v16, -v113
	v_mul_f16_sdwa v53, v53, v16 dst_sel:DWORD dst_unused:UNUSED_PAD src0_sel:DWORD src1_sel:WORD_1
	v_fma_f16 v53, v57, v16, v53
	v_mul_f16_sdwa v57, v80, v17 dst_sel:DWORD dst_unused:UNUSED_PAD src0_sel:DWORD src1_sel:WORD_1
	v_fma_f16 v57, v44, v17, -v57
	v_mul_f16_sdwa v44, v44, v17 dst_sel:DWORD dst_unused:UNUSED_PAD src0_sel:DWORD src1_sel:WORD_1
	v_fma_f16 v44, v80, v17, v44
	v_mul_f16_sdwa v80, v90, v18 dst_sel:DWORD dst_unused:UNUSED_PAD src0_sel:DWORD src1_sel:WORD_1
	v_fma_f16 v80, v49, v18, -v80
	v_mul_f16_sdwa v49, v49, v18 dst_sel:DWORD dst_unused:UNUSED_PAD src0_sel:DWORD src1_sel:WORD_1
	v_fma_f16 v49, v90, v18, v49
	v_mul_f16_sdwa v90, v91, v19 dst_sel:DWORD dst_unused:UNUSED_PAD src0_sel:DWORD src1_sel:WORD_1
	v_fma_f16 v90, v50, v19, -v90
	v_mul_f16_sdwa v50, v50, v19 dst_sel:DWORD dst_unused:UNUSED_PAD src0_sel:DWORD src1_sel:WORD_1
	v_fma_f16 v50, v91, v19, v50
	s_waitcnt vmcnt(3)
	v_mul_f16_sdwa v91, v93, v20 dst_sel:DWORD dst_unused:UNUSED_PAD src0_sel:DWORD src1_sel:WORD_1
	v_fma_f16 v91, v54, v20, -v91
	v_mul_f16_sdwa v54, v54, v20 dst_sel:DWORD dst_unused:UNUSED_PAD src0_sel:DWORD src1_sel:WORD_1
	v_fma_f16 v54, v93, v20, v54
	v_mul_f16_sdwa v93, v94, v21 dst_sel:DWORD dst_unused:UNUSED_PAD src0_sel:DWORD src1_sel:WORD_1
	v_fma_f16 v93, v45, v21, -v93
	v_mul_f16_sdwa v45, v45, v21 dst_sel:DWORD dst_unused:UNUSED_PAD src0_sel:DWORD src1_sel:WORD_1
	v_fma_f16 v45, v94, v21, v45
	v_mul_f16_sdwa v94, v95, v22 dst_sel:DWORD dst_unused:UNUSED_PAD src0_sel:DWORD src1_sel:WORD_1
	v_fma_f16 v94, v58, v22, -v94
	v_mul_f16_sdwa v58, v58, v22 dst_sel:DWORD dst_unused:UNUSED_PAD src0_sel:DWORD src1_sel:WORD_1
	v_fma_f16 v58, v95, v22, v58
	v_mul_f16_sdwa v95, v96, v23 dst_sel:DWORD dst_unused:UNUSED_PAD src0_sel:DWORD src1_sel:WORD_1
	v_fma_f16 v95, v51, v23, -v95
	v_mul_f16_sdwa v51, v51, v23 dst_sel:DWORD dst_unused:UNUSED_PAD src0_sel:DWORD src1_sel:WORD_1
	v_fma_f16 v51, v96, v23, v51
	;; [unrolled: 17-line block ×5, first 2 shown]
	v_add_f16_e32 v48, v42, v113
	v_add_f16_e32 v48, v48, v57
	;; [unrolled: 1-line block ×5, first 2 shown]
	v_fma_f16 v48, v48, -0.5, v42
	v_sub_f16_e32 v89, v53, v50
	v_fma_f16 v116, v89, s5, v48
	v_sub_f16_e32 v117, v44, v49
	v_sub_f16_e32 v118, v113, v57
	;; [unrolled: 1-line block ×3, first 2 shown]
	v_fma_f16 v48, v89, s7, v48
	v_fma_f16 v116, v117, s4, v116
	v_add_f16_e32 v118, v118, v119
	v_fma_f16 v48, v117, s14, v48
	v_fma_f16 v116, v118, s6, v116
	;; [unrolled: 1-line block ×3, first 2 shown]
	v_add_f16_e32 v48, v113, v90
	v_fma_f16 v42, v48, -0.5, v42
	v_fma_f16 v48, v117, s7, v42
	v_sub_f16_e32 v119, v57, v113
	v_sub_f16_e32 v120, v80, v90
	v_fma_f16 v42, v117, s5, v42
	v_add_f16_e32 v119, v119, v120
	v_fma_f16 v42, v89, s14, v42
	v_fma_f16 v117, v119, s6, v42
	v_add_f16_e32 v42, v37, v53
	v_add_f16_e32 v42, v42, v44
	v_fma_f16 v48, v89, s4, v48
	v_add_f16_e32 v42, v42, v49
	v_fma_f16 v120, v119, s6, v48
	v_add_f16_e32 v119, v42, v50
	v_add_f16_e32 v42, v44, v49
	v_fma_f16 v42, v42, -0.5, v37
	v_sub_f16_e32 v48, v113, v90
	v_fma_f16 v89, v48, s7, v42
	v_sub_f16_e32 v57, v57, v80
	v_fma_f16 v80, v57, s14, v89
	v_sub_f16_e32 v89, v53, v44
	v_sub_f16_e32 v90, v50, v49
	v_fma_f16 v42, v48, s5, v42
	v_add_f16_e32 v89, v89, v90
	v_fma_f16 v42, v57, s4, v42
	v_fma_f16 v121, v89, s6, v42
	v_add_f16_e32 v42, v53, v50
	v_fma_f16 v37, v42, -0.5, v37
	v_fma_f16 v42, v57, s5, v37
	v_sub_f16_e32 v44, v44, v53
	v_sub_f16_e32 v49, v49, v50
	v_fma_f16 v37, v57, s7, v37
	v_add_f16_e32 v44, v44, v49
	v_fma_f16 v37, v48, s4, v37
	v_fma_f16 v57, v44, s6, v37
	v_add_f16_e32 v37, v43, v91
	v_add_f16_e32 v37, v37, v93
	;; [unrolled: 1-line block ×3, first 2 shown]
	v_fma_f16 v42, v48, s14, v42
	v_add_f16_e32 v123, v37, v95
	v_add_f16_e32 v37, v93, v94
	v_fma_f16 v122, v44, s6, v42
	v_fma_f16 v37, v37, -0.5, v43
	v_sub_f16_e32 v42, v54, v51
	v_fma_f16 v44, v42, s5, v37
	v_sub_f16_e32 v48, v45, v58
	v_sub_f16_e32 v49, v91, v93
	;; [unrolled: 1-line block ×3, first 2 shown]
	v_fma_f16 v37, v42, s7, v37
	v_add_f16_e32 v49, v49, v50
	v_fma_f16 v37, v48, s14, v37
	v_fma_f16 v125, v49, s6, v37
	v_add_f16_e32 v37, v91, v95
	v_fma_f16 v44, v48, s4, v44
	v_fma_f16 v37, v37, -0.5, v43
	v_fma_f16 v124, v49, s6, v44
	v_fma_f16 v43, v48, s7, v37
	v_sub_f16_e32 v44, v93, v91
	v_sub_f16_e32 v49, v94, v95
	v_fma_f16 v37, v48, s5, v37
	v_add_f16_e32 v44, v44, v49
	v_fma_f16 v37, v42, s14, v37
	v_fma_f16 v127, v44, s6, v37
	v_add_f16_e32 v37, v92, v54
	v_add_f16_e32 v37, v37, v45
	v_add_f16_e32 v37, v37, v58
	v_add_f16_e32 v128, v37, v51
	v_add_f16_e32 v37, v45, v58
	v_fma_f16 v43, v42, s4, v43
	v_fma_f16 v37, v37, -0.5, v92
	v_sub_f16_e32 v42, v91, v95
	v_fma_f16 v126, v44, s6, v43
	v_fma_f16 v43, v42, s7, v37
	v_sub_f16_e32 v44, v93, v94
	v_sub_f16_e32 v48, v54, v45
	;; [unrolled: 1-line block ×3, first 2 shown]
	v_fma_f16 v37, v42, s5, v37
	v_add_f16_e32 v48, v48, v49
	v_fma_f16 v37, v44, s4, v37
	v_fma_f16 v130, v48, s6, v37
	v_add_f16_e32 v37, v54, v51
	v_fma_f16 v43, v44, s14, v43
	v_fma_f16 v37, v37, -0.5, v92
	v_fma_f16 v129, v48, s6, v43
	v_fma_f16 v43, v44, s5, v37
	v_sub_f16_e32 v45, v45, v54
	v_sub_f16_e32 v48, v58, v51
	v_fma_f16 v37, v44, s7, v37
	v_add_f16_e32 v45, v45, v48
	v_fma_f16 v37, v42, s4, v37
	v_fma_f16 v58, v45, s6, v37
	v_add_f16_e32 v37, v46, v96
	v_add_f16_e32 v37, v37, v98
	;; [unrolled: 1-line block ×5, first 2 shown]
	v_fma_f16 v43, v42, s14, v43
	v_fma_f16 v37, v37, -0.5, v46
	v_sub_f16_e32 v42, v55, v62
	v_fma_f16 v54, v45, s6, v43
	v_fma_f16 v43, v42, s5, v37
	v_sub_f16_e32 v44, v60, v59
	v_sub_f16_e32 v45, v96, v98
	;; [unrolled: 1-line block ×3, first 2 shown]
	v_fma_f16 v37, v42, s7, v37
	v_fma_f16 v43, v44, s4, v43
	v_add_f16_e32 v45, v45, v48
	v_fma_f16 v37, v44, s14, v37
	v_fma_f16 v132, v45, s6, v43
	;; [unrolled: 1-line block ×3, first 2 shown]
	v_add_f16_e32 v37, v96, v100
	v_fma_f16 v37, v37, -0.5, v46
	v_fma_f16 v45, v44, s7, v37
	v_sub_f16_e32 v46, v98, v96
	v_sub_f16_e32 v48, v99, v100
	v_fma_f16 v37, v44, s5, v37
	v_add_f16_e32 v46, v46, v48
	v_fma_f16 v37, v42, s14, v37
	v_fma_f16 v45, v42, s4, v45
	;; [unrolled: 1-line block ×3, first 2 shown]
	v_add_f16_e32 v37, v97, v55
	v_add_f16_e32 v37, v37, v60
	v_add_f16_e32 v37, v37, v59
	v_add_f16_e32 v134, v37, v62
	v_add_f16_e32 v37, v60, v59
	v_fma_f16 v37, v37, -0.5, v97
	v_sub_f16_e32 v44, v96, v100
	v_fma_f16 v133, v46, s6, v45
	v_fma_f16 v45, v44, s7, v37
	v_sub_f16_e32 v46, v98, v99
	v_sub_f16_e32 v48, v55, v60
	;; [unrolled: 1-line block ×3, first 2 shown]
	v_fma_f16 v37, v44, s5, v37
	v_add_f16_e32 v48, v48, v49
	v_fma_f16 v37, v46, s4, v37
	v_fma_f16 v113, v89, s6, v80
	;; [unrolled: 1-line block ×3, first 2 shown]
	v_add_f16_e32 v37, v55, v62
	v_fma_f16 v45, v46, s14, v45
	v_fma_f16 v37, v37, -0.5, v97
	v_fma_f16 v100, v48, s6, v45
	v_fma_f16 v45, v46, s5, v37
	v_sub_f16_e32 v48, v60, v55
	v_sub_f16_e32 v49, v59, v62
	v_fma_f16 v45, v44, s14, v45
	v_add_f16_e32 v48, v48, v49
	v_fma_f16 v55, v48, s6, v45
	v_fma_f16 v37, v46, s7, v37
	v_add_f16_e32 v45, v103, v104
	v_fma_f16 v37, v44, s4, v37
	v_fma_f16 v46, v45, -0.5, v47
	v_sub_f16_e32 v49, v64, v63
	v_fma_f16 v37, v48, s6, v37
	v_fma_f16 v45, v49, s5, v46
	v_sub_f16_e32 v50, v61, v88
	v_sub_f16_e32 v48, v101, v103
	;; [unrolled: 1-line block ×3, first 2 shown]
	v_fma_f16 v46, v49, s7, v46
	v_fma_f16 v45, v50, s4, v45
	v_add_f16_e32 v48, v48, v51
	v_fma_f16 v46, v50, s14, v46
	v_fma_f16 v45, v48, s6, v45
	;; [unrolled: 1-line block ×3, first 2 shown]
	v_add_f16_e32 v48, v101, v105
	v_add_f16_e32 v44, v47, v101
	v_fma_f16 v47, v48, -0.5, v47
	v_fma_f16 v48, v50, s7, v47
	v_sub_f16_e32 v51, v103, v101
	v_sub_f16_e32 v53, v104, v105
	v_fma_f16 v47, v50, s5, v47
	v_add_f16_e32 v51, v51, v53
	v_fma_f16 v47, v49, s14, v47
	v_fma_f16 v48, v49, s4, v48
	v_fma_f16 v49, v51, s6, v47
	v_add_f16_e32 v47, v102, v64
	v_add_f16_e32 v47, v47, v61
	;; [unrolled: 1-line block ×5, first 2 shown]
	v_fma_f16 v47, v47, -0.5, v102
	v_sub_f16_e32 v50, v101, v105
	v_fma_f16 v48, v51, s6, v48
	v_fma_f16 v51, v50, s7, v47
	v_sub_f16_e32 v53, v103, v104
	v_sub_f16_e32 v59, v64, v61
	;; [unrolled: 1-line block ×3, first 2 shown]
	v_fma_f16 v47, v50, s5, v47
	v_add_f16_e32 v59, v59, v60
	v_fma_f16 v47, v53, s4, v47
	v_fma_f16 v92, v59, s6, v47
	v_add_f16_e32 v47, v64, v63
	v_fma_f16 v51, v53, s14, v51
	v_fma_f16 v47, v47, -0.5, v102
	v_fma_f16 v91, v59, s6, v51
	v_fma_f16 v51, v53, s5, v47
	v_sub_f16_e32 v59, v61, v64
	v_sub_f16_e32 v60, v88, v63
	v_fma_f16 v47, v53, s7, v47
	v_fma_f16 v51, v50, s14, v51
	v_add_f16_e32 v59, v59, v60
	v_fma_f16 v47, v50, s4, v47
	v_add_f16_e32 v50, v109, v114
	v_fma_f16 v93, v59, s6, v51
	v_fma_f16 v94, v59, s6, v47
	v_fma_f16 v51, v50, -0.5, v52
	v_sub_f16_e32 v59, v65, v107
	v_fma_f16 v50, v59, s5, v51
	v_sub_f16_e32 v60, v110, v111
	v_sub_f16_e32 v53, v106, v109
	v_sub_f16_e32 v61, v115, v114
	v_fma_f16 v51, v59, s7, v51
	v_fma_f16 v50, v60, s4, v50
	v_add_f16_e32 v53, v53, v61
	v_fma_f16 v51, v60, s14, v51
	v_fma_f16 v50, v53, s6, v50
	;; [unrolled: 1-line block ×3, first 2 shown]
	v_add_f16_e32 v51, v106, v115
	v_add_f16_e32 v47, v52, v106
	v_fma_f16 v52, v51, -0.5, v52
	v_fma_f16 v51, v60, s7, v52
	v_fma_f16 v52, v60, s5, v52
	;; [unrolled: 1-line block ×4, first 2 shown]
	v_add_f16_e32 v59, v108, v65
	v_add_f16_e32 v59, v59, v110
	;; [unrolled: 1-line block ×3, first 2 shown]
	v_sub_f16_e32 v61, v109, v106
	v_sub_f16_e32 v62, v114, v115
	v_add_f16_e32 v95, v59, v107
	v_add_f16_e32 v59, v110, v111
	;; [unrolled: 1-line block ×3, first 2 shown]
	v_fma_f16 v59, v59, -0.5, v108
	v_sub_f16_e32 v60, v106, v115
	v_fma_f16 v51, v61, s6, v51
	v_fma_f16 v52, v61, s6, v52
	;; [unrolled: 1-line block ×3, first 2 shown]
	v_sub_f16_e32 v62, v109, v114
	v_sub_f16_e32 v63, v65, v110
	;; [unrolled: 1-line block ×3, first 2 shown]
	v_fma_f16 v59, v60, s5, v59
	v_add_f16_e32 v63, v63, v64
	v_fma_f16 v59, v62, s4, v59
	v_fma_f16 v97, v63, s6, v59
	v_add_f16_e32 v59, v65, v107
	v_fma_f16 v61, v62, s14, v61
	v_fma_f16 v59, v59, -0.5, v108
	v_fma_f16 v96, v63, s6, v61
	v_fma_f16 v61, v62, s5, v59
	;; [unrolled: 1-line block ×4, first 2 shown]
	v_sub_f16_e32 v63, v110, v65
	v_sub_f16_e32 v64, v111, v107
	v_fma_f16 v59, v60, s4, v59
	v_lshl_add_u32 v80, v36, 2, v79
	v_pack_b32_f16 v60, v120, v122
	v_pack_b32_f16 v54, v126, v54
	v_add_f16_e32 v63, v63, v64
	v_pack_b32_f16 v57, v117, v57
	ds_write2_b32 v80, v60, v54 offset0:130 offset1:143
	v_pack_b32_f16 v54, v127, v58
	v_fma_f16 v98, v63, s6, v61
	v_pack_b32_f16 v61, v118, v121
	ds_write2_b32 v80, v57, v54 offset0:195 offset1:208
	v_pack_b32_f16 v54, v125, v130
	v_add_u32_e32 v57, 0x400, v80
	v_pack_b32_f16 v62, v123, v128
	ds_write2_b32 v57, v61, v54 offset0:4 offset1:17
	v_pack_b32_f16 v54, v131, v134
	ds_write2_b32 v80, v62, v54 offset0:13 offset1:26
	v_pack_b32_f16 v54, v132, v100
	v_pack_b32_f16 v61, v45, v91
	v_add_f16_e32 v44, v44, v103
	v_add_f16_e32 v47, v47, v109
	v_fma_f16 v99, v63, s6, v59
	v_pack_b32_f16 v59, v112, v119
	v_pack_b32_f16 v55, v133, v55
	ds_write2_b32 v80, v54, v61 offset0:91 offset1:104
	v_pack_b32_f16 v54, v48, v93
	v_add_f16_e32 v44, v44, v104
	v_add_f16_e32 v47, v47, v114
	ds_write_b32 v41, v59
	v_pack_b32_f16 v59, v116, v113
	v_pack_b32_f16 v63, v124, v129
	;; [unrolled: 1-line block ×3, first 2 shown]
	ds_write2_b32 v80, v55, v54 offset0:156 offset1:169
	v_pack_b32_f16 v54, v49, v94
	v_add_f16_e32 v44, v44, v105
	v_add_f16_e32 v47, v47, v115
	ds_write2_b32 v80, v59, v63 offset0:65 offset1:78
	v_pack_b32_f16 v59, v43, v89
	ds_write2_b32 v80, v58, v54 offset0:221 offset1:234
	v_pack_b32_f16 v54, v46, v92
	v_pack_b32_f16 v60, v44, v90
	ds_write2_b32 v57, v59, v54 offset0:30 offset1:43
	v_pack_b32_f16 v54, v47, v95
	ds_write2_b32 v80, v60, v54 offset0:39 offset1:52
	v_pack_b32_f16 v54, v50, v96
	v_pack_b32_f16 v55, v51, v98
	ds_write2_b32 v41, v54, v55 offset0:117 offset1:182
	v_pack_b32_f16 v54, v52, v99
	v_pack_b32_f16 v55, v53, v97
	v_add_u32_e32 v57, 0x200, v41
	ds_write2_b32 v57, v54, v55 offset0:119 offset1:184
	s_waitcnt lgkmcnt(0)
	; wave barrier
	s_waitcnt lgkmcnt(0)
	global_load_dword v55, v[38:39], off offset:1300
	s_add_u32 s4, s12, 0x514
	s_addc_u32 s5, s13, 0
	v_lshlrev_b32_e32 v54, 2, v36
	global_load_dword v62, v54, s[4:5] offset:100
	global_load_dword v63, v54, s[4:5] offset:200
	;; [unrolled: 1-line block ×12, first 2 shown]
	ds_read2_b32 v[58:59], v41 offset1:25
	s_waitcnt lgkmcnt(0)
	v_lshrrev_b32_e32 v60, 16, v58
	s_waitcnt vmcnt(12)
	v_mul_f16_sdwa v61, v60, v55 dst_sel:DWORD dst_unused:UNUSED_PAD src0_sel:DWORD src1_sel:WORD_1
	v_fma_f16 v61, v58, v55, -v61
	v_mul_f16_sdwa v58, v58, v55 dst_sel:DWORD dst_unused:UNUSED_PAD src0_sel:DWORD src1_sel:WORD_1
	v_fma_f16 v55, v60, v55, v58
	v_lshrrev_b32_e32 v58, 16, v59
	s_waitcnt vmcnt(11)
	v_mul_f16_sdwa v60, v58, v62 dst_sel:DWORD dst_unused:UNUSED_PAD src0_sel:DWORD src1_sel:WORD_1
	v_pack_b32_f16 v55, v61, v55
	v_fma_f16 v107, v59, v62, -v60
	ds_read2_b32 v[60:61], v41 offset0:50 offset1:75
	v_mul_f16_sdwa v59, v59, v62 dst_sel:DWORD dst_unused:UNUSED_PAD src0_sel:DWORD src1_sel:WORD_1
	v_fma_f16 v58, v58, v62, v59
	v_pack_b32_f16 v58, v107, v58
	ds_write2_b32 v41, v55, v58 offset1:25
	s_waitcnt lgkmcnt(1)
	v_lshrrev_b32_e32 v55, 16, v60
	s_waitcnt vmcnt(10)
	v_mul_f16_sdwa v58, v55, v63 dst_sel:DWORD dst_unused:UNUSED_PAD src0_sel:DWORD src1_sel:WORD_1
	v_mul_f16_sdwa v59, v60, v63 dst_sel:DWORD dst_unused:UNUSED_PAD src0_sel:DWORD src1_sel:WORD_1
	v_fma_f16 v58, v60, v63, -v58
	v_fma_f16 v55, v55, v63, v59
	v_lshrrev_b32_e32 v60, 16, v61
	v_pack_b32_f16 v55, v58, v55
	s_waitcnt vmcnt(9)
	v_mul_f16_sdwa v58, v60, v64 dst_sel:DWORD dst_unused:UNUSED_PAD src0_sel:DWORD src1_sel:WORD_1
	v_fma_f16 v62, v61, v64, -v58
	ds_read2_b32 v[58:59], v41 offset0:100 offset1:125
	v_mul_f16_sdwa v61, v61, v64 dst_sel:DWORD dst_unused:UNUSED_PAD src0_sel:DWORD src1_sel:WORD_1
	v_fma_f16 v60, v60, v64, v61
	v_pack_b32_f16 v60, v62, v60
	ds_write2_b32 v41, v55, v60 offset0:50 offset1:75
	s_waitcnt lgkmcnt(1)
	v_lshrrev_b32_e32 v55, 16, v58
	s_waitcnt vmcnt(8)
	v_mul_f16_sdwa v60, v55, v65 dst_sel:DWORD dst_unused:UNUSED_PAD src0_sel:DWORD src1_sel:WORD_1
	v_fma_f16 v60, v58, v65, -v60
	v_mul_f16_sdwa v58, v58, v65 dst_sel:DWORD dst_unused:UNUSED_PAD src0_sel:DWORD src1_sel:WORD_1
	v_fma_f16 v55, v55, v65, v58
	v_lshrrev_b32_e32 v58, 16, v59
	v_pack_b32_f16 v55, v60, v55
	s_waitcnt vmcnt(7)
	v_mul_f16_sdwa v60, v58, v88 dst_sel:DWORD dst_unused:UNUSED_PAD src0_sel:DWORD src1_sel:WORD_1
	v_fma_f16 v62, v59, v88, -v60
	ds_read2_b32 v[60:61], v41 offset0:150 offset1:175
	v_mul_f16_sdwa v59, v59, v88 dst_sel:DWORD dst_unused:UNUSED_PAD src0_sel:DWORD src1_sel:WORD_1
	v_fma_f16 v58, v58, v88, v59
	v_pack_b32_f16 v58, v62, v58
	ds_write2_b32 v41, v55, v58 offset0:100 offset1:125
	s_waitcnt lgkmcnt(1)
	v_lshrrev_b32_e32 v55, 16, v60
	s_waitcnt vmcnt(6)
	v_mul_f16_sdwa v58, v55, v100 dst_sel:DWORD dst_unused:UNUSED_PAD src0_sel:DWORD src1_sel:WORD_1
	v_mul_f16_sdwa v59, v60, v100 dst_sel:DWORD dst_unused:UNUSED_PAD src0_sel:DWORD src1_sel:WORD_1
	v_fma_f16 v58, v60, v100, -v58
	v_fma_f16 v55, v55, v100, v59
	v_lshrrev_b32_e32 v60, 16, v61
	v_pack_b32_f16 v55, v58, v55
	s_waitcnt vmcnt(5)
	v_mul_f16_sdwa v58, v60, v101 dst_sel:DWORD dst_unused:UNUSED_PAD src0_sel:DWORD src1_sel:WORD_1
	v_fma_f16 v62, v61, v101, -v58
	ds_read2_b32 v[58:59], v41 offset0:200 offset1:225
	v_mul_f16_sdwa v61, v61, v101 dst_sel:DWORD dst_unused:UNUSED_PAD src0_sel:DWORD src1_sel:WORD_1
	v_fma_f16 v60, v60, v101, v61
	v_pack_b32_f16 v60, v62, v60
	ds_write2_b32 v41, v55, v60 offset0:150 offset1:175
	s_waitcnt lgkmcnt(1)
	v_lshrrev_b32_e32 v55, 16, v58
	s_waitcnt vmcnt(4)
	v_mul_f16_sdwa v60, v55, v102 dst_sel:DWORD dst_unused:UNUSED_PAD src0_sel:DWORD src1_sel:WORD_1
	v_fma_f16 v60, v58, v102, -v60
	v_mul_f16_sdwa v58, v58, v102 dst_sel:DWORD dst_unused:UNUSED_PAD src0_sel:DWORD src1_sel:WORD_1
	v_fma_f16 v55, v55, v102, v58
	v_lshrrev_b32_e32 v58, 16, v59
	v_pack_b32_f16 v55, v60, v55
	s_waitcnt vmcnt(3)
	v_mul_f16_sdwa v60, v58, v103 dst_sel:DWORD dst_unused:UNUSED_PAD src0_sel:DWORD src1_sel:WORD_1
	v_fma_f16 v62, v59, v103, -v60
	ds_read2_b32 v[60:61], v57 offset0:122 offset1:147
	v_mul_f16_sdwa v59, v59, v103 dst_sel:DWORD dst_unused:UNUSED_PAD src0_sel:DWORD src1_sel:WORD_1
	v_fma_f16 v58, v58, v103, v59
	v_pack_b32_f16 v58, v62, v58
	ds_write2_b32 v41, v55, v58 offset0:200 offset1:225
	s_waitcnt lgkmcnt(1)
	v_lshrrev_b32_e32 v55, 16, v60
	s_waitcnt vmcnt(2)
	v_mul_f16_sdwa v58, v55, v104 dst_sel:DWORD dst_unused:UNUSED_PAD src0_sel:DWORD src1_sel:WORD_1
	v_mul_f16_sdwa v59, v60, v104 dst_sel:DWORD dst_unused:UNUSED_PAD src0_sel:DWORD src1_sel:WORD_1
	v_fma_f16 v58, v60, v104, -v58
	v_fma_f16 v55, v55, v104, v59
	v_pack_b32_f16 v55, v58, v55
	v_lshrrev_b32_e32 v58, 16, v61
	ds_read_b32 v60, v41 offset:1200
	s_waitcnt vmcnt(1)
	v_mul_f16_sdwa v59, v58, v105 dst_sel:DWORD dst_unused:UNUSED_PAD src0_sel:DWORD src1_sel:WORD_1
	v_fma_f16 v59, v61, v105, -v59
	v_mul_f16_sdwa v61, v61, v105 dst_sel:DWORD dst_unused:UNUSED_PAD src0_sel:DWORD src1_sel:WORD_1
	v_fma_f16 v58, v58, v105, v61
	v_pack_b32_f16 v58, v59, v58
	ds_write2_b32 v57, v55, v58 offset0:122 offset1:147
	s_waitcnt lgkmcnt(1)
	v_lshrrev_b32_e32 v55, 16, v60
	s_waitcnt vmcnt(0)
	v_mul_f16_sdwa v58, v55, v106 dst_sel:DWORD dst_unused:UNUSED_PAD src0_sel:DWORD src1_sel:WORD_1
	v_mul_f16_sdwa v59, v60, v106 dst_sel:DWORD dst_unused:UNUSED_PAD src0_sel:DWORD src1_sel:WORD_1
	v_fma_f16 v58, v60, v106, -v58
	v_fma_f16 v55, v55, v106, v59
	v_pack_b32_f16 v55, v58, v55
	ds_write_b32 v41, v55 offset:1200
	s_and_saveexec_b64 s[0:1], vcc
	s_cbranch_execz .LBB0_9
; %bb.8:
	v_mov_b32_e32 v55, 0
	v_lshl_add_u64 v[54:55], s[4:5], 0, v[54:55]
	global_load_dword v58, v[54:55], off offset:52
	global_load_dword v88, v[54:55], off offset:152
	;; [unrolled: 1-line block ×13, first 2 shown]
	ds_read_b32 v59, v80 offset:52
	s_waitcnt lgkmcnt(0)
	v_lshrrev_b32_e32 v54, 16, v59
	s_waitcnt vmcnt(12)
	v_mul_f16_sdwa v55, v54, v58 dst_sel:DWORD dst_unused:UNUSED_PAD src0_sel:DWORD src1_sel:WORD_1
	v_mul_f16_sdwa v60, v59, v58 dst_sel:DWORD dst_unused:UNUSED_PAD src0_sel:DWORD src1_sel:WORD_1
	v_fma_f16 v55, v59, v58, -v55
	v_fma_f16 v54, v54, v58, v60
	v_pack_b32_f16 v54, v55, v54
	ds_write_b32 v80, v54 offset:52
	ds_read2_b32 v[54:55], v41 offset0:38 offset1:63
	ds_read2_b32 v[58:59], v41 offset0:88 offset1:113
	;; [unrolled: 1-line block ×6, first 2 shown]
	s_waitcnt lgkmcnt(5)
	v_lshrrev_b32_e32 v113, 16, v54
	s_waitcnt vmcnt(11)
	v_mul_f16_sdwa v114, v54, v88 dst_sel:DWORD dst_unused:UNUSED_PAD src0_sel:DWORD src1_sel:WORD_1
	v_lshrrev_b32_e32 v115, 16, v55
	s_waitcnt vmcnt(10)
	v_mul_f16_sdwa v116, v55, v102 dst_sel:DWORD dst_unused:UNUSED_PAD src0_sel:DWORD src1_sel:WORD_1
	s_waitcnt lgkmcnt(4)
	v_lshrrev_b32_e32 v117, 16, v58
	s_waitcnt vmcnt(9)
	v_mul_f16_sdwa v118, v58, v103 dst_sel:DWORD dst_unused:UNUSED_PAD src0_sel:DWORD src1_sel:WORD_1
	v_lshrrev_b32_e32 v119, 16, v59
	s_waitcnt vmcnt(8)
	v_mul_f16_sdwa v120, v59, v104 dst_sel:DWORD dst_unused:UNUSED_PAD src0_sel:DWORD src1_sel:WORD_1
	;; [unrolled: 7-line block ×4, first 2 shown]
	s_waitcnt lgkmcnt(1)
	v_lshrrev_b32_e32 v129, 16, v64
	s_waitcnt vmcnt(3)
	v_mul_f16_sdwa v130, v64, v109 dst_sel:DWORD dst_unused:UNUSED_PAD src0_sel:DWORD src1_sel:WORD_1
	v_lshrrev_b32_e32 v131, 16, v65
	v_mul_f16_sdwa v134, v113, v88 dst_sel:DWORD dst_unused:UNUSED_PAD src0_sel:DWORD src1_sel:WORD_1
	v_fma_f16 v113, v113, v88, v114
	v_mul_f16_sdwa v114, v115, v102 dst_sel:DWORD dst_unused:UNUSED_PAD src0_sel:DWORD src1_sel:WORD_1
	s_waitcnt vmcnt(2)
	v_mul_f16_sdwa v132, v65, v110 dst_sel:DWORD dst_unused:UNUSED_PAD src0_sel:DWORD src1_sel:WORD_1
	v_fma_f16 v115, v115, v102, v116
	v_mul_f16_sdwa v116, v117, v103 dst_sel:DWORD dst_unused:UNUSED_PAD src0_sel:DWORD src1_sel:WORD_1
	v_fma_f16 v117, v117, v103, v118
	;; [unrolled: 2-line block ×8, first 2 shown]
	v_mul_f16_sdwa v130, v131, v110 dst_sel:DWORD dst_unused:UNUSED_PAD src0_sel:DWORD src1_sel:WORD_1
	v_fma_f16 v54, v54, v88, -v134
	v_fma_f16 v55, v55, v102, -v114
	s_waitcnt lgkmcnt(0)
	v_lshrrev_b32_e32 v133, 16, v100
	v_fma_f16 v131, v131, v110, v132
	v_fma_f16 v58, v58, v103, -v116
	v_fma_f16 v59, v59, v104, -v118
	;; [unrolled: 1-line block ×8, first 2 shown]
	v_pack_b32_f16 v54, v54, v113
	v_pack_b32_f16 v55, v55, v115
	s_waitcnt vmcnt(1)
	v_mul_f16_sdwa v132, v133, v111 dst_sel:DWORD dst_unused:UNUSED_PAD src0_sel:DWORD src1_sel:WORD_1
	v_pack_b32_f16 v58, v58, v117
	v_pack_b32_f16 v59, v59, v119
	;; [unrolled: 1-line block ×8, first 2 shown]
	ds_write2_b32 v41, v54, v55 offset0:38 offset1:63
	ds_write2_b32 v41, v58, v59 offset0:88 offset1:113
	ds_write2_b32 v41, v60, v61 offset0:138 offset1:163
	ds_write2_b32 v41, v62, v63 offset0:188 offset1:213
	ds_write2_b32 v57, v64, v65 offset0:110 offset1:135
	v_mul_f16_sdwa v55, v100, v111 dst_sel:DWORD dst_unused:UNUSED_PAD src0_sel:DWORD src1_sel:WORD_1
	v_fma_f16 v54, v100, v111, -v132
	v_fma_f16 v55, v133, v111, v55
	v_pack_b32_f16 v54, v54, v55
	v_lshrrev_b32_e32 v55, 16, v101
	s_waitcnt vmcnt(0)
	v_mul_f16_sdwa v58, v55, v112 dst_sel:DWORD dst_unused:UNUSED_PAD src0_sel:DWORD src1_sel:WORD_1
	v_mul_f16_sdwa v59, v101, v112 dst_sel:DWORD dst_unused:UNUSED_PAD src0_sel:DWORD src1_sel:WORD_1
	v_fma_f16 v58, v101, v112, -v58
	v_fma_f16 v55, v55, v112, v59
	v_pack_b32_f16 v55, v58, v55
	ds_write2_b32 v56, v54, v55 offset0:32 offset1:57
.LBB0_9:
	s_or_b64 exec, exec, s[0:1]
	s_waitcnt lgkmcnt(0)
	; wave barrier
	s_waitcnt lgkmcnt(0)
	ds_read2_b32 v[54:55], v41 offset1:25
	ds_read2_b32 v[64:65], v41 offset0:50 offset1:75
	ds_read2_b32 v[62:63], v41 offset0:100 offset1:125
	;; [unrolled: 1-line block ×5, first 2 shown]
	ds_read_b32 v100, v41 offset:1200
	s_and_saveexec_b64 s[0:1], vcc
	s_cbranch_execz .LBB0_11
; %bb.10:
	v_add_u32_e32 v52, 0x400, v80
	ds_read2_b32 v[42:43], v80 offset0:13 offset1:38
	ds_read2_b32 v[44:45], v80 offset0:63 offset1:88
	;; [unrolled: 1-line block ×6, first 2 shown]
	ds_read_b32 v83, v80 offset:1252
	s_waitcnt lgkmcnt(6)
	v_lshrrev_b32_e32 v37, 16, v42
	v_lshrrev_b32_e32 v89, 16, v43
	s_waitcnt lgkmcnt(5)
	v_lshrrev_b32_e32 v90, 16, v44
	v_lshrrev_b32_e32 v91, 16, v45
	;; [unrolled: 3-line block ×6, first 2 shown]
	s_waitcnt lgkmcnt(0)
	v_lshrrev_b32_e32 v82, 16, v83
.LBB0_11:
	s_or_b64 exec, exec, s[0:1]
	s_waitcnt lgkmcnt(6)
	v_pk_add_f16 v101, v54, v55
	s_waitcnt lgkmcnt(0)
	v_pk_add_f16 v102, v100, v55
	v_pk_add_f16 v55, v55, v100 neg_lo:[0,1] neg_hi:[0,1]
	s_mov_b32 s7, 0xb770
	v_pk_add_f16 v101, v101, v64
	v_mul_f16_sdwa v103, v55, s7 dst_sel:DWORD dst_unused:UNUSED_PAD src0_sel:WORD_1 src1_sel:DWORD
	s_movk_i32 s5, 0x3b15
	v_pk_add_f16 v119, v57, v64
	v_pk_add_f16 v64, v64, v57 neg_lo:[0,1] neg_hi:[0,1]
	s_mov_b32 s21, 0xba95
	v_fma_f16 v104, v102, s5, v103
	v_mul_f16_sdwa v120, v64, s21 dst_sel:DWORD dst_unused:UNUSED_PAD src0_sel:WORD_1 src1_sel:DWORD
	s_movk_i32 s19, 0x388b
	v_add_f16_e32 v104, v54, v104
	v_mul_f16_sdwa v105, v102, s5 dst_sel:DWORD dst_unused:UNUSED_PAD src0_sel:WORD_1 src1_sel:DWORD
	s_movk_i32 s14, 0x3770
	v_fma_f16 v103, v102, s5, -v103
	v_fma_f16 v121, v119, s19, v120
	v_fma_f16 v106, v55, s14, v105
	v_add_f16_e32 v103, v54, v103
	v_fma_f16 v105, v55, s7, v105
	s_mov_b32 s12, 0xbbf1
	v_add_f16_e32 v104, v121, v104
	v_mul_f16_sdwa v121, v119, s19 dst_sel:DWORD dst_unused:UNUSED_PAD src0_sel:WORD_1 src1_sel:DWORD
	v_fma_f16 v120, v119, s19, -v120
	v_add_f16_sdwa v105, v54, v105 dst_sel:DWORD dst_unused:UNUSED_PAD src0_sel:WORD_1 src1_sel:DWORD
	v_mul_f16_sdwa v107, v55, s12 dst_sel:DWORD dst_unused:UNUSED_PAD src0_sel:WORD_1 src1_sel:DWORD
	s_movk_i32 s6, 0x2fb7
	v_add_f16_e32 v103, v120, v103
	v_fma_f16 v120, v64, s21, v121
	s_mov_b32 s22, 0xb3a8
	v_fma_f16 v108, v102, s6, v107
	s_movk_i32 s25, 0x3a95
	v_add_f16_e32 v105, v120, v105
	v_mul_f16_sdwa v120, v64, s22 dst_sel:DWORD dst_unused:UNUSED_PAD src0_sel:WORD_1 src1_sel:DWORD
	s_mov_b32 s20, 0xbbc4
	v_add_f16_e32 v108, v54, v108
	v_mul_f16_sdwa v109, v102, s6 dst_sel:DWORD dst_unused:UNUSED_PAD src0_sel:WORD_1 src1_sel:DWORD
	s_movk_i32 s18, 0x3bf1
	v_fma_f16 v107, v102, s6, -v107
	v_fma_f16 v122, v64, s25, v121
	v_fma_f16 v121, v119, s20, v120
	;; [unrolled: 1-line block ×3, first 2 shown]
	v_add_f16_e32 v107, v54, v107
	v_fma_f16 v109, v55, s12, v109
	s_mov_b32 s15, 0xbb7b
	v_add_f16_e32 v108, v121, v108
	v_mul_f16_sdwa v121, v119, s20 dst_sel:DWORD dst_unused:UNUSED_PAD src0_sel:WORD_1 src1_sel:DWORD
	v_fma_f16 v120, v119, s20, -v120
	v_add_f16_sdwa v109, v54, v109 dst_sel:DWORD dst_unused:UNUSED_PAD src0_sel:WORD_1 src1_sel:DWORD
	v_mul_f16_sdwa v111, v55, s15 dst_sel:DWORD dst_unused:UNUSED_PAD src0_sel:WORD_1 src1_sel:DWORD
	s_mov_b32 s13, 0xb5ac
	s_movk_i32 s23, 0x394e
	v_add_f16_e32 v107, v120, v107
	v_fma_f16 v120, v64, s22, v121
	v_add_f16_sdwa v106, v54, v106 dst_sel:DWORD dst_unused:UNUSED_PAD src0_sel:WORD_1 src1_sel:DWORD
	v_fma_f16 v112, v102, s13, v111
	s_mov_b32 s16, 0xb9fd
	s_movk_i32 s26, 0x33a8
	v_add_f16_e32 v109, v120, v109
	v_mul_f16_sdwa v120, v64, s23 dst_sel:DWORD dst_unused:UNUSED_PAD src0_sel:WORD_1 src1_sel:DWORD
	v_add_f16_e32 v112, v54, v112
	v_mul_f16_sdwa v113, v102, s13 dst_sel:DWORD dst_unused:UNUSED_PAD src0_sel:WORD_1 src1_sel:DWORD
	s_movk_i32 s24, 0x3b7b
	v_fma_f16 v111, v102, s13, -v111
	v_add_f16_e32 v106, v122, v106
	v_fma_f16 v122, v64, s26, v121
	v_fma_f16 v121, v119, s16, v120
	;; [unrolled: 1-line block ×3, first 2 shown]
	v_add_f16_e32 v111, v54, v111
	v_fma_f16 v113, v55, s15, v113
	s_mov_b32 s17, 0xb94e
	v_add_f16_e32 v112, v121, v112
	v_mul_f16_sdwa v121, v119, s16 dst_sel:DWORD dst_unused:UNUSED_PAD src0_sel:WORD_1 src1_sel:DWORD
	v_fma_f16 v120, v119, s16, -v120
	v_add_f16_sdwa v113, v54, v113 dst_sel:DWORD dst_unused:UNUSED_PAD src0_sel:WORD_1 src1_sel:DWORD
	v_mul_f16_sdwa v115, v55, s17 dst_sel:DWORD dst_unused:UNUSED_PAD src0_sel:WORD_1 src1_sel:DWORD
	v_add_f16_e32 v111, v120, v111
	v_fma_f16 v120, v64, s23, v121
	v_add_f16_sdwa v110, v54, v110 dst_sel:DWORD dst_unused:UNUSED_PAD src0_sel:WORD_1 src1_sel:DWORD
	v_fma_f16 v116, v102, s16, v115
	v_add_f16_e32 v113, v120, v113
	v_mul_f16_sdwa v120, v64, s18 dst_sel:DWORD dst_unused:UNUSED_PAD src0_sel:WORD_1 src1_sel:DWORD
	v_add_f16_e32 v116, v54, v116
	v_mul_f16_sdwa v117, v102, s16 dst_sel:DWORD dst_unused:UNUSED_PAD src0_sel:WORD_1 src1_sel:DWORD
	v_fma_f16 v115, v102, s16, -v115
	v_add_f16_e32 v110, v122, v110
	v_fma_f16 v122, v64, s17, v121
	v_fma_f16 v121, v119, s6, v120
	;; [unrolled: 1-line block ×3, first 2 shown]
	v_add_f16_e32 v115, v54, v115
	v_fma_f16 v117, v55, s17, v117
	v_add_f16_e32 v116, v121, v116
	v_mul_f16_sdwa v121, v119, s6 dst_sel:DWORD dst_unused:UNUSED_PAD src0_sel:WORD_1 src1_sel:DWORD
	v_fma_f16 v120, v119, s6, -v120
	v_add_f16_sdwa v117, v54, v117 dst_sel:DWORD dst_unused:UNUSED_PAD src0_sel:WORD_1 src1_sel:DWORD
	v_add_f16_e32 v115, v120, v115
	v_fma_f16 v120, v64, s18, v121
	v_pk_add_f16 v101, v101, v65
	v_add_f16_sdwa v114, v54, v114 dst_sel:DWORD dst_unused:UNUSED_PAD src0_sel:WORD_1 src1_sel:DWORD
	v_add_f16_e32 v117, v120, v117
	v_pk_add_f16 v120, v56, v65
	v_pk_add_f16 v65, v65, v56 neg_lo:[0,1] neg_hi:[0,1]
	v_add_f16_sdwa v118, v54, v118 dst_sel:DWORD dst_unused:UNUSED_PAD src0_sel:WORD_1 src1_sel:DWORD
	v_add_f16_e32 v114, v122, v114
	v_fma_f16 v122, v64, s12, v121
	v_mul_f16_sdwa v121, v65, s12 dst_sel:DWORD dst_unused:UNUSED_PAD src0_sel:WORD_1 src1_sel:DWORD
	v_add_f16_e32 v118, v122, v118
	v_fma_f16 v122, v120, s6, v121
	v_add_f16_e32 v104, v122, v104
	v_mul_f16_sdwa v122, v120, s6 dst_sel:DWORD dst_unused:UNUSED_PAD src0_sel:WORD_1 src1_sel:DWORD
	v_fma_f16 v121, v120, s6, -v121
	v_add_f16_e32 v103, v121, v103
	v_fma_f16 v121, v65, s12, v122
	v_add_f16_e32 v105, v121, v105
	v_mul_f16_sdwa v121, v65, s24 dst_sel:DWORD dst_unused:UNUSED_PAD src0_sel:WORD_1 src1_sel:DWORD
	v_fma_f16 v123, v65, s18, v122
	v_fma_f16 v122, v120, s13, v121
	v_add_f16_e32 v108, v122, v108
	v_mul_f16_sdwa v122, v120, s13 dst_sel:DWORD dst_unused:UNUSED_PAD src0_sel:WORD_1 src1_sel:DWORD
	v_fma_f16 v121, v120, s13, -v121
	v_add_f16_e32 v107, v121, v107
	v_fma_f16 v121, v65, s24, v122
	v_add_f16_e32 v109, v121, v109
	v_mul_f16_sdwa v121, v65, s14 dst_sel:DWORD dst_unused:UNUSED_PAD src0_sel:WORD_1 src1_sel:DWORD
	v_add_f16_e32 v106, v123, v106
	v_fma_f16 v123, v65, s15, v122
	v_fma_f16 v122, v120, s5, v121
	v_add_f16_e32 v112, v122, v112
	v_mul_f16_sdwa v122, v120, s5 dst_sel:DWORD dst_unused:UNUSED_PAD src0_sel:WORD_1 src1_sel:DWORD
	v_fma_f16 v121, v120, s5, -v121
	v_add_f16_e32 v111, v121, v111
	v_fma_f16 v121, v65, s14, v122
	v_add_f16_e32 v113, v121, v113
	v_mul_f16_sdwa v121, v65, s21 dst_sel:DWORD dst_unused:UNUSED_PAD src0_sel:WORD_1 src1_sel:DWORD
	v_add_f16_e32 v110, v123, v110
	v_fma_f16 v123, v65, s7, v122
	v_fma_f16 v122, v120, s19, v121
	v_add_f16_e32 v116, v122, v116
	v_mul_f16_sdwa v122, v120, s19 dst_sel:DWORD dst_unused:UNUSED_PAD src0_sel:WORD_1 src1_sel:DWORD
	v_fma_f16 v121, v120, s19, -v121
	v_add_f16_e32 v115, v121, v115
	v_fma_f16 v121, v65, s21, v122
	v_pk_add_f16 v101, v101, v62
	v_add_f16_e32 v117, v121, v117
	v_pk_add_f16 v121, v61, v62
	v_pk_add_f16 v62, v62, v61 neg_lo:[0,1] neg_hi:[0,1]
	v_add_f16_e32 v114, v123, v114
	v_fma_f16 v123, v65, s25, v122
	v_mul_f16_sdwa v122, v62, s15 dst_sel:DWORD dst_unused:UNUSED_PAD src0_sel:WORD_1 src1_sel:DWORD
	v_add_f16_e32 v118, v123, v118
	v_fma_f16 v123, v121, s13, v122
	v_add_f16_e32 v104, v123, v104
	v_mul_f16_sdwa v123, v121, s13 dst_sel:DWORD dst_unused:UNUSED_PAD src0_sel:WORD_1 src1_sel:DWORD
	v_fma_f16 v122, v121, s13, -v122
	v_add_f16_e32 v103, v122, v103
	v_fma_f16 v122, v62, s15, v123
	v_add_f16_e32 v105, v122, v105
	v_mul_f16_sdwa v122, v62, s14 dst_sel:DWORD dst_unused:UNUSED_PAD src0_sel:WORD_1 src1_sel:DWORD
	v_fma_f16 v124, v62, s24, v123
	v_fma_f16 v123, v121, s5, v122
	v_add_f16_e32 v108, v123, v108
	v_mul_f16_sdwa v123, v121, s5 dst_sel:DWORD dst_unused:UNUSED_PAD src0_sel:WORD_1 src1_sel:DWORD
	v_fma_f16 v122, v121, s5, -v122
	v_add_f16_e32 v107, v122, v107
	v_fma_f16 v122, v62, s14, v123
	v_add_f16_e32 v109, v122, v109
	v_mul_f16_sdwa v122, v62, s12 dst_sel:DWORD dst_unused:UNUSED_PAD src0_sel:WORD_1 src1_sel:DWORD
	v_add_f16_e32 v106, v124, v106
	v_fma_f16 v124, v62, s7, v123
	v_fma_f16 v123, v121, s6, v122
	v_add_f16_e32 v112, v123, v112
	v_mul_f16_sdwa v123, v121, s6 dst_sel:DWORD dst_unused:UNUSED_PAD src0_sel:WORD_1 src1_sel:DWORD
	v_fma_f16 v122, v121, s6, -v122
	v_add_f16_e32 v111, v122, v111
	v_fma_f16 v122, v62, s12, v123
	v_add_f16_e32 v113, v122, v113
	v_mul_f16_sdwa v122, v62, s26 dst_sel:DWORD dst_unused:UNUSED_PAD src0_sel:WORD_1 src1_sel:DWORD
	v_pk_add_f16 v101, v101, v63
	v_add_f16_e32 v110, v124, v110
	v_fma_f16 v124, v62, s18, v123
	v_fma_f16 v123, v121, s20, v122
	v_pk_add_f16 v101, v101, v58
	v_add_f16_e32 v116, v123, v116
	v_mul_f16_sdwa v123, v121, s20 dst_sel:DWORD dst_unused:UNUSED_PAD src0_sel:WORD_1 src1_sel:DWORD
	v_fma_f16 v122, v121, s20, -v122
	v_pk_add_f16 v101, v101, v59
	v_add_f16_e32 v115, v122, v115
	v_fma_f16 v122, v62, s26, v123
	v_pk_add_f16 v101, v101, v60
	v_add_f16_e32 v117, v122, v117
	v_pk_add_f16 v122, v60, v63
	v_pk_add_f16 v60, v63, v60 neg_lo:[0,1] neg_hi:[0,1]
	v_add_f16_e32 v114, v124, v114
	v_mul_f16_sdwa v63, v60, s17 dst_sel:DWORD dst_unused:UNUSED_PAD src0_sel:WORD_1 src1_sel:DWORD
	v_fma_f16 v124, v62, s22, v123
	v_fma_f16 v123, v122, s16, v63
	v_add_f16_e32 v104, v123, v104
	v_mul_f16_sdwa v123, v122, s16 dst_sel:DWORD dst_unused:UNUSED_PAD src0_sel:WORD_1 src1_sel:DWORD
	v_fma_f16 v63, v122, s16, -v63
	v_add_f16_e32 v63, v63, v103
	v_fma_f16 v103, v60, s17, v123
	v_add_f16_e32 v103, v103, v105
	v_mul_f16_sdwa v105, v60, s21 dst_sel:DWORD dst_unused:UNUSED_PAD src0_sel:WORD_1 src1_sel:DWORD
	v_add_f16_e32 v118, v124, v118
	v_fma_f16 v124, v60, s23, v123
	v_fma_f16 v123, v122, s19, v105
	v_add_f16_e32 v108, v123, v108
	v_mul_f16_sdwa v123, v122, s19 dst_sel:DWORD dst_unused:UNUSED_PAD src0_sel:WORD_1 src1_sel:DWORD
	v_fma_f16 v105, v122, s19, -v105
	v_add_f16_e32 v105, v105, v107
	v_fma_f16 v107, v60, s21, v123
	v_add_f16_e32 v107, v107, v109
	v_mul_f16_sdwa v109, v60, s26 dst_sel:DWORD dst_unused:UNUSED_PAD src0_sel:WORD_1 src1_sel:DWORD
	v_add_f16_e32 v106, v124, v106
	;; [unrolled: 10-line block ×3, first 2 shown]
	v_fma_f16 v124, v60, s22, v123
	v_fma_f16 v123, v122, s5, v113
	v_add_f16_e32 v116, v123, v116
	v_mul_f16_sdwa v123, v122, s5 dst_sel:DWORD dst_unused:UNUSED_PAD src0_sel:WORD_1 src1_sel:DWORD
	v_fma_f16 v113, v122, s5, -v113
	v_add_f16_e32 v113, v113, v115
	v_fma_f16 v115, v60, s14, v123
	v_add_f16_e32 v115, v115, v117
	v_pk_add_f16 v117, v58, v59 neg_lo:[0,1] neg_hi:[0,1]
	v_pk_add_f16 v58, v59, v58
	v_pk_add_f16 v59, v101, v61
	v_add_f16_e32 v114, v124, v114
	v_fma_f16 v124, v60, s7, v123
	v_pk_mul_f16 v123, v117, s22 op_sel_hi:[1,0]
	v_pk_add_f16 v56, v59, v56
	v_pk_fma_f16 v61, v58, s20, v123 op_sel:[0,0,1] op_sel_hi:[1,0,0]
	v_pk_add_f16 v56, v56, v57
	v_pk_fma_f16 v57, v58, s20, v123 op_sel:[0,0,1] op_sel_hi:[1,0,0] neg_lo:[0,0,1] neg_hi:[0,0,1]
	s_mov_b32 s4, 0xffff
	v_pk_mul_f16 v59, v58, s20 op_sel_hi:[1,0]
	v_bfi_b32 v57, s4, v61, v57
	v_pack_b32_f16 v61, v104, v106
	v_add_f16_e32 v118, v124, v118
	v_mul_f16_sdwa v124, v117, s17 dst_sel:DWORD dst_unused:UNUSED_PAD src0_sel:WORD_1 src1_sel:DWORD
	v_pk_add_f16 v57, v57, v61
	v_sub_f16_sdwa v61, v59, v123 dst_sel:DWORD dst_unused:UNUSED_PAD src0_sel:DWORD src1_sel:WORD_1
	v_add_f16_sdwa v59, v123, v59 dst_sel:DWORD dst_unused:UNUSED_PAD src0_sel:DWORD src1_sel:WORD_1
	v_add_f16_e32 v59, v59, v103
	v_fma_f16 v103, v58, s16, -v124
	v_pk_add_f16 v56, v56, v100
	v_mul_f16_sdwa v100, v58, s16 dst_sel:DWORD dst_unused:UNUSED_PAD src0_sel:WORD_1 src1_sel:DWORD
	v_add_f16_e32 v103, v103, v105
	v_mul_f16_sdwa v105, v58, s19 dst_sel:DWORD dst_unused:UNUSED_PAD src0_sel:WORD_1 src1_sel:DWORD
	v_mul_f16_sdwa v125, v117, s25 dst_sel:DWORD dst_unused:UNUSED_PAD src0_sel:WORD_1 src1_sel:DWORD
	;; [unrolled: 1-line block ×3, first 2 shown]
	v_fma_f16 v101, v117, s23, v100
	v_fma_f16 v100, v117, s17, v100
	;; [unrolled: 1-line block ×4, first 2 shown]
	s_waitcnt lgkmcnt(0)
	; wave barrier
	v_add_f16_e32 v100, v100, v107
	v_fma_f16 v107, v58, s19, -v125
	v_add_f16_e32 v105, v105, v111
	v_fma_f16 v111, v58, s13, -v126
	ds_write2_b32 v84, v56, v57 offset1:1
	v_pk_mul_f16 v56, v55, s21 op_sel_hi:[1,0]
	v_fma_f16 v104, v58, s19, v125
	v_add_f16_e32 v107, v107, v109
	v_mul_f16_sdwa v109, v58, s13 dst_sel:DWORD dst_unused:UNUSED_PAD src0_sel:WORD_1 src1_sel:DWORD
	v_add_f16_e32 v111, v111, v113
	v_pk_fma_f16 v57, v102, s19, v56 op_sel:[0,0,1] op_sel_hi:[1,0,0]
	v_pk_fma_f16 v56, v102, s19, v56 op_sel:[0,0,1] op_sel_hi:[1,0,0] neg_lo:[0,0,1] neg_hi:[0,0,1]
	v_pk_mul_f16 v113, v64, s15 op_sel_hi:[1,0]
	v_add_f16_e32 v101, v101, v110
	v_add_f16_e32 v104, v104, v112
	;; [unrolled: 1-line block ×3, first 2 shown]
	v_fma_f16 v110, v117, s24, v109
	v_fma_f16 v109, v117, s15, v109
	v_bfi_b32 v112, s4, v57, v56
	v_pk_fma_f16 v114, v119, s13, v113 op_sel:[0,0,1] op_sel_hi:[1,0,0]
	v_pk_fma_f16 v113, v119, s13, v113 op_sel:[0,0,1] op_sel_hi:[1,0,0] neg_lo:[0,0,1] neg_hi:[0,0,1]
	v_add_f16_e32 v61, v61, v63
	v_fma_f16 v63, v58, s16, v124
	v_add_f16_e32 v109, v109, v115
	v_pk_add_f16 v112, v54, v112
	v_bfi_b32 v115, s4, v114, v113
	v_add_f16_e32 v63, v63, v108
	v_fma_f16 v108, v58, s13, v126
	v_pk_add_f16 v112, v115, v112
	v_pk_mul_f16 v115, v65, s22 op_sel_hi:[1,0]
	v_add_f16_e32 v108, v108, v116
	v_pk_fma_f16 v116, v120, s20, v115 op_sel:[0,0,1] op_sel_hi:[1,0,0]
	v_pk_fma_f16 v115, v120, s20, v115 op_sel:[0,0,1] op_sel_hi:[1,0,0] neg_lo:[0,0,1] neg_hi:[0,0,1]
	v_add_f16_e32 v110, v110, v118
	v_bfi_b32 v118, s4, v116, v115
	v_pk_add_f16 v112, v118, v112
	v_pk_mul_f16 v118, v62, s23 op_sel_hi:[1,0]
	v_pack_b32_f16 v63, v63, v101
	v_pk_fma_f16 v123, v121, s16, v118 op_sel:[0,0,1] op_sel_hi:[1,0,0]
	v_pk_fma_f16 v118, v121, s16, v118 op_sel:[0,0,1] op_sel_hi:[1,0,0] neg_lo:[0,0,1] neg_hi:[0,0,1]
	v_pack_b32_f16 v101, v104, v106
	v_bfi_b32 v124, s4, v123, v118
	v_pk_add_f16 v112, v124, v112
	v_pk_mul_f16 v124, v60, s18 op_sel_hi:[1,0]
	v_add_f16_e32 v56, v54, v56
	v_pk_fma_f16 v125, v122, s6, v124 op_sel:[0,0,1] op_sel_hi:[1,0,0]
	v_pk_fma_f16 v124, v122, s6, v124 op_sel:[0,0,1] op_sel_hi:[1,0,0] neg_lo:[0,0,1] neg_hi:[0,0,1]
	v_add_f16_sdwa v57, v54, v57 dst_sel:DWORD dst_unused:UNUSED_PAD src0_sel:WORD_1 src1_sel:WORD_1
	v_bfi_b32 v126, s4, v125, v124
	v_pk_add_f16 v112, v126, v112
	v_pk_mul_f16 v126, v117, s14 op_sel_hi:[1,0]
	v_add_f16_e32 v56, v113, v56
	v_pk_fma_f16 v127, v58, s5, v126 op_sel:[0,0,1] op_sel_hi:[1,0,0]
	v_pk_fma_f16 v126, v58, s5, v126 op_sel:[0,0,1] op_sel_hi:[1,0,0] neg_lo:[0,0,1] neg_hi:[0,0,1]
	v_pk_mul_f16 v58, v58, s6 op_sel_hi:[1,0]
	v_bfi_b32 v128, s4, v127, v126
	v_pk_add_f16 v112, v128, v112
	ds_write2_b32 v84, v112, v63 offset0:2 offset1:3
	v_pack_b32_f16 v63, v108, v110
	ds_write2_b32 v84, v101, v63 offset0:4 offset1:5
	v_pk_mul_f16 v63, v102, s20 op_sel_hi:[1,0]
	v_add_f16_sdwa v57, v114, v57 dst_sel:DWORD dst_unused:UNUSED_PAD src0_sel:WORD_1 src1_sel:DWORD
	v_pk_fma_f16 v101, v55, s22, v63 op_sel:[0,0,1] op_sel_hi:[1,0,0]
	v_pk_fma_f16 v55, v55, s22, v63 op_sel:[0,0,1] op_sel_hi:[1,0,0] neg_lo:[1,0,0] neg_hi:[1,0,0]
	v_alignbit_b32 v102, s0, v101, 16
	v_pk_add_f16 v102, v54, v102
	v_pk_add_f16 v55, v54, v55 op_sel:[1,0] op_sel_hi:[0,1]
	v_alignbit_b32 v54, s0, v54, 16
	v_pk_mul_f16 v63, v119, s5 op_sel_hi:[1,0]
	v_pk_add_f16 v54, v54, v101
	v_pk_fma_f16 v101, v64, s14, v63 op_sel:[0,0,1] op_sel_hi:[1,0,0]
	v_pk_fma_f16 v63, v64, s14, v63 op_sel:[0,0,1] op_sel_hi:[1,0,0] neg_lo:[1,0,0] neg_hi:[1,0,0]
	v_pk_add_f16 v54, v101, v54
	v_pk_add_f16 v55, v63, v55
	v_pk_mul_f16 v63, v120, s16 op_sel_hi:[1,0]
	v_alignbit_b32 v104, s0, v101, 16
	v_pk_fma_f16 v64, v65, s17, v63 op_sel:[0,0,1] op_sel_hi:[1,0,0]
	v_pk_fma_f16 v63, v65, s17, v63 op_sel:[0,0,1] op_sel_hi:[1,0,0] neg_lo:[1,0,0] neg_hi:[1,0,0]
	v_alignbit_b32 v101, s0, v64, 16
	v_pk_add_f16 v55, v63, v55
	v_pk_mul_f16 v63, v121, s19 op_sel_hi:[1,0]
	v_pk_add_f16 v54, v64, v54
	v_pk_fma_f16 v64, v62, s25, v63 op_sel:[0,0,1] op_sel_hi:[1,0,0]
	v_pk_fma_f16 v62, v62, s25, v63 op_sel:[0,0,1] op_sel_hi:[1,0,0] neg_lo:[1,0,0] neg_hi:[1,0,0]
	v_pk_add_f16 v102, v104, v102
	v_pk_add_f16 v55, v62, v55
	v_pk_mul_f16 v62, v122, s13 op_sel_hi:[1,0]
	v_pk_add_f16 v101, v101, v102
	v_alignbit_b32 v65, s0, v64, 16
	v_pk_fma_f16 v63, v60, s15, v62 op_sel:[0,0,1] op_sel_hi:[1,0,0]
	v_pk_fma_f16 v60, v60, s15, v62 op_sel:[0,0,1] op_sel_hi:[1,0,0] neg_lo:[1,0,0] neg_hi:[1,0,0]
	v_pk_add_f16 v65, v65, v101
	v_pk_add_f16 v54, v64, v54
	v_alignbit_b32 v64, s0, v63, 16
	v_pk_add_f16 v55, v60, v55
	v_pk_fma_f16 v60, v117, s18, v58 op_sel:[0,0,1] op_sel_hi:[1,0,0]
	v_add_f16_e32 v56, v115, v56
	v_add_f16_sdwa v57, v116, v57 dst_sel:DWORD dst_unused:UNUSED_PAD src0_sel:WORD_1 src1_sel:DWORD
	v_pk_add_f16 v64, v64, v65
	v_pk_add_f16 v54, v63, v54
	v_alignbit_b32 v62, s0, v60, 16
	v_pk_fma_f16 v58, v117, s18, v58 op_sel:[0,0,1] op_sel_hi:[1,0,0] neg_lo:[1,0,0] neg_hi:[1,0,0]
	v_add_f16_e32 v56, v118, v56
	v_add_f16_sdwa v57, v123, v57 dst_sel:DWORD dst_unused:UNUSED_PAD src0_sel:WORD_1 src1_sel:DWORD
	v_pk_add_f16 v62, v62, v64
	v_pk_add_f16 v55, v58, v55
	;; [unrolled: 1-line block ×3, first 2 shown]
	v_add_f16_e32 v56, v124, v56
	v_add_f16_sdwa v57, v125, v57 dst_sel:DWORD dst_unused:UNUSED_PAD src0_sel:WORD_1 src1_sel:DWORD
	v_alignbit_b32 v54, v54, v55, 16
	v_pack_b32_f16 v55, v62, v55
	v_add_f16_e32 v56, v126, v56
	v_add_f16_sdwa v57, v127, v57 dst_sel:DWORD dst_unused:UNUSED_PAD src0_sel:WORD_1 src1_sel:DWORD
	ds_write2_b32 v84, v55, v54 offset0:6 offset1:7
	v_pack_b32_f16 v54, v107, v105
	v_pack_b32_f16 v55, v111, v109
	ds_write2_b32 v84, v55, v54 offset0:8 offset1:9
	v_pack_b32_f16 v54, v56, v57
	v_pack_b32_f16 v55, v103, v100
	v_add_u32_e32 v88, 0xd0, v41
	ds_write2_b32 v84, v55, v54 offset0:10 offset1:11
	v_pack_b32_f16 v54, v61, v59
	ds_write_b32 v84, v54 offset:48
	s_and_saveexec_b64 s[0:1], vcc
	s_cbranch_execz .LBB0_13
; %bb.12:
	v_add_f16_e32 v54, v82, v89
	v_mul_f16_e32 v55, 0xbbc4, v54
	v_sub_f16_e32 v56, v43, v83
	v_add_f16_e32 v58, v97, v90
	v_fma_f16 v57, v56, s26, v55
	v_mul_f16_e32 v59, 0x3b15, v58
	v_sub_f16_e32 v60, v44, v53
	v_add_f16_e32 v57, v37, v57
	v_fma_f16 v61, v60, s7, v59
	v_add_f16_e32 v57, v61, v57
	v_add_f16_e32 v61, v99, v91
	v_mul_f16_e32 v62, 0xb9fd, v61
	v_sub_f16_e32 v63, v45, v52
	v_fma_f16 v64, v63, s23, v62
	v_add_f16_e32 v57, v64, v57
	v_add_f16_e32 v64, v98, v93
	v_mul_f16_e32 v65, 0x388b, v64
	v_sub_f16_e32 v84, v48, v51
	;; [unrolled: 5-line block ×4, first 2 shown]
	v_fma_f16 v106, v105, s12, v104
	v_sub_f16_e32 v107, v89, v82
	v_add_f16_e32 v57, v106, v57
	v_add_f16_e32 v106, v83, v43
	v_mul_f16_e32 v108, 0xb3a8, v107
	v_sub_f16_e32 v111, v90, v97
	v_fma_f16 v109, v106, s20, v108
	v_add_f16_e32 v110, v53, v44
	v_mul_f16_e32 v112, 0x3770, v111
	v_add_f16_e32 v109, v42, v109
	v_fma_f16 v113, v110, s5, v112
	v_sub_f16_e32 v114, v91, v99
	v_add_f16_e32 v109, v113, v109
	v_add_f16_e32 v113, v52, v45
	v_mul_f16_e32 v115, 0xb94e, v114
	v_fma_f16 v116, v113, s16, v115
	v_sub_f16_e32 v117, v93, v98
	v_add_f16_e32 v109, v116, v109
	v_add_f16_e32 v116, v51, v48
	v_mul_f16_e32 v118, 0x3a95, v117
	;; [unrolled: 5-line block ×4, first 2 shown]
	v_fma_f16 v125, v122, s6, v124
	v_add_f16_e32 v109, v125, v109
	v_mul_f16_e32 v125, 0xb9fd, v54
	v_fma_f16 v126, v56, s23, v125
	v_mul_f16_e32 v127, 0x2fb7, v58
	v_add_f16_e32 v126, v37, v126
	v_fma_f16 v128, v60, s12, v127
	v_add_f16_e32 v126, v128, v126
	v_mul_f16_e32 v128, 0x388b, v61
	v_fma_f16 v129, v63, s25, v128
	v_add_f16_e32 v126, v129, v126
	v_mul_f16_e32 v129, 0xbbc4, v64
	v_fma_f16 v130, v84, s22, v129
	v_add_f16_e32 v126, v130, v126
	v_mul_f16_e32 v130, 0x3b15, v100
	v_fma_f16 v131, v102, s7, v130
	v_add_f16_e32 v126, v131, v126
	v_mul_f16_e32 v131, 0xb5ac, v103
	v_fma_f16 v132, v105, s24, v131
	v_add_f16_e32 v126, v132, v126
	v_mul_f16_e32 v132, 0xb94e, v107
	v_fma_f16 v133, v106, s16, v132
	v_mul_f16_e32 v134, 0x3bf1, v111
	v_add_f16_e32 v133, v42, v133
	v_fma_f16 v135, v110, s6, v134
	v_add_f16_e32 v133, v135, v133
	v_mul_f16_e32 v135, 0xba95, v114
	v_fma_f16 v136, v113, s19, v135
	v_add_f16_e32 v133, v136, v133
	v_mul_f16_e32 v136, 0x33a8, v117
	v_fma_f16 v137, v116, s20, v136
	v_add_f16_e32 v133, v137, v133
	v_mul_f16_e32 v137, 0x3770, v120
	v_fma_f16 v138, v119, s5, v137
	v_add_f16_e32 v133, v138, v133
	v_mul_f16_e32 v138, 0xbb7b, v123
	;; [unrolled: 18-line block ×3, first 2 shown]
	v_fma_f16 v146, v105, s21, v145
	v_add_f16_e32 v140, v146, v140
	v_mul_f16_e32 v146, 0xbb7b, v107
	v_fma_f16 v147, v106, s13, v146
	v_mul_f16_e32 v148, 0x394e, v111
	v_add_f16_e32 v147, v42, v147
	v_fma_f16 v149, v110, s16, v148
	v_add_f16_e32 v147, v149, v147
	v_mul_f16_e32 v149, 0x3770, v114
	v_fma_f16 v150, v113, s5, v149
	v_add_f16_e32 v43, v43, v42
	v_add_f16_e32 v147, v150, v147
	v_mul_f16_e32 v150, 0xbbf1, v117
	v_add_f16_e32 v43, v44, v43
	v_fma_f16 v151, v116, s6, v150
	v_add_f16_e32 v43, v45, v43
	v_add_f16_e32 v147, v151, v147
	v_mul_f16_e32 v151, 0x33a8, v120
	v_add_f16_e32 v43, v48, v43
	v_fma_f16 v152, v119, s20, v151
	v_add_f16_e32 v43, v49, v43
	v_fma_f16 v45, v56, s22, v55
	v_add_f16_e32 v147, v152, v147
	v_mul_f16_e32 v152, 0x3a95, v123
	v_add_f16_e32 v43, v46, v43
	v_add_f16_e32 v45, v37, v45
	v_fma_f16 v46, v60, s14, v59
	v_fma_f16 v153, v122, s19, v152
	v_add_f16_e32 v45, v46, v45
	v_fma_f16 v46, v63, s17, v62
	v_add_f16_e32 v147, v153, v147
	v_mul_f16_e32 v153, 0x2fb7, v54
	v_add_f16_e32 v45, v46, v45
	v_fma_f16 v46, v84, s25, v65
	v_fma_f16 v154, v56, s18, v153
	v_mul_f16_e32 v155, 0xbbc4, v58
	v_add_f16_e32 v45, v46, v45
	v_fma_f16 v46, v102, s15, v101
	v_add_f16_e32 v154, v37, v154
	v_fma_f16 v156, v60, s26, v155
	;; [unrolled: 2-line block ×3, first 2 shown]
	v_add_f16_e32 v154, v156, v154
	v_mul_f16_e32 v156, 0xb5ac, v61
	v_add_f16_e32 v45, v46, v45
	v_fma_f16 v46, v106, s20, -v108
	v_fma_f16 v157, v63, s15, v156
	v_add_f16_e32 v43, v47, v43
	v_add_f16_e32 v46, v42, v46
	v_fma_f16 v47, v110, s5, -v112
	v_add_f16_e32 v154, v157, v154
	v_mul_f16_e32 v157, 0x3b15, v64
	v_add_f16_e32 v46, v47, v46
	v_fma_f16 v47, v113, s16, -v115
	v_fma_f16 v158, v84, s7, v157
	v_add_f16_e32 v46, v47, v46
	v_fma_f16 v47, v116, s19, -v118
	v_add_f16_e32 v154, v158, v154
	v_mul_f16_e32 v158, 0x388b, v100
	v_add_f16_e32 v46, v47, v46
	v_fma_f16 v47, v119, s13, -v121
	v_fma_f16 v159, v102, s25, v158
	v_add_f16_e32 v46, v47, v46
	v_fma_f16 v47, v122, s6, -v124
	v_add_f16_e32 v154, v159, v154
	v_mul_f16_e32 v159, 0xb9fd, v103
	v_add_f16_e32 v46, v47, v46
	v_fma_f16 v47, v56, s17, v125
	v_fma_f16 v160, v105, s23, v159
	v_add_f16_e32 v47, v37, v47
	v_fma_f16 v48, v60, s18, v127
	v_add_f16_e32 v154, v160, v154
	v_mul_f16_e32 v160, 0xbbf1, v107
	v_add_f16_e32 v47, v48, v47
	v_fma_f16 v48, v63, s21, v128
	v_fma_f16 v161, v106, s6, v160
	v_mul_f16_e32 v162, 0xb3a8, v111
	v_add_f16_e32 v47, v48, v47
	v_fma_f16 v48, v84, s26, v129
	v_add_f16_e32 v161, v42, v161
	v_fma_f16 v163, v110, s20, v162
	v_add_f16_e32 v47, v48, v47
	v_fma_f16 v48, v102, s14, v130
	v_add_f16_e32 v161, v163, v161
	v_mul_f16_e32 v163, 0x3b7b, v114
	v_add_f16_e32 v47, v48, v47
	v_fma_f16 v48, v105, s15, v131
	v_fma_f16 v164, v113, s13, v163
	v_add_f16_e32 v47, v48, v47
	v_fma_f16 v48, v106, s16, -v132
	v_add_f16_e32 v161, v164, v161
	v_mul_f16_e32 v164, 0x3770, v117
	v_add_f16_e32 v48, v42, v48
	v_fma_f16 v49, v110, s6, -v134
	v_fma_f16 v165, v116, s5, v164
	v_add_f16_e32 v48, v49, v48
	v_fma_f16 v49, v113, s19, -v135
	v_add_f16_e32 v161, v165, v161
	v_mul_f16_e32 v165, 0xba95, v120
	v_add_f16_e32 v48, v49, v48
	v_fma_f16 v49, v116, s20, -v136
	;; [unrolled: 7-line block ×3, first 2 shown]
	v_fma_f16 v167, v122, s16, v166
	v_add_f16_e32 v48, v49, v48
	v_fma_f16 v49, v56, s15, v139
	v_add_f16_e32 v161, v167, v161
	v_mul_f16_e32 v167, 0x388b, v54
	v_add_f16_e32 v43, v50, v43
	v_add_f16_e32 v49, v37, v49
	v_fma_f16 v50, v60, s23, v141
	v_fma_f16 v168, v56, s25, v167
	v_mul_f16_e32 v169, 0xb5ac, v58
	v_add_f16_e32 v49, v50, v49
	v_fma_f16 v50, v63, s14, v142
	v_add_f16_e32 v168, v37, v168
	v_fma_f16 v170, v60, s24, v169
	;; [unrolled: 2-line block ×3, first 2 shown]
	v_add_f16_e32 v168, v170, v168
	v_mul_f16_e32 v170, 0xbbc4, v61
	v_add_f16_e32 v49, v50, v49
	v_fma_f16 v50, v102, s26, v144
	v_fma_f16 v171, v63, s26, v170
	v_add_f16_e32 v49, v50, v49
	v_fma_f16 v50, v105, s25, v145
	v_add_f16_e32 v168, v171, v168
	v_mul_f16_e32 v171, 0xb9fd, v64
	v_add_f16_e32 v49, v50, v49
	v_fma_f16 v50, v106, s13, -v146
	v_fma_f16 v172, v84, s17, v171
	v_add_f16_e32 v43, v51, v43
	v_add_f16_e32 v50, v42, v50
	v_fma_f16 v51, v110, s16, -v148
	v_add_f16_e32 v168, v172, v168
	v_mul_f16_e32 v172, 0x2fb7, v100
	v_add_f16_e32 v50, v51, v50
	v_fma_f16 v51, v113, s5, -v149
	v_fma_f16 v173, v102, s12, v172
	v_add_f16_e32 v50, v51, v50
	v_fma_f16 v51, v116, s6, -v150
	v_add_f16_e32 v168, v173, v168
	v_mul_f16_e32 v173, 0x3b15, v103
	v_add_f16_e32 v50, v51, v50
	v_fma_f16 v51, v119, s20, -v151
	v_fma_f16 v174, v105, s7, v173
	v_add_f16_e32 v50, v51, v50
	v_fma_f16 v51, v122, s19, -v152
	v_add_f16_e32 v168, v174, v168
	v_mul_f16_e32 v174, 0xba95, v107
	v_add_f16_e32 v50, v51, v50
	v_fma_f16 v51, v56, s12, v153
	v_fma_f16 v175, v106, s19, v174
	v_mul_f16_e32 v176, 0xbb7b, v111
	v_add_f16_e32 v43, v52, v43
	v_add_f16_e32 v51, v37, v51
	v_fma_f16 v52, v60, s22, v155
	v_add_f16_e32 v175, v42, v175
	v_fma_f16 v177, v110, s13, v176
	;; [unrolled: 2-line block ×3, first 2 shown]
	v_add_f16_e32 v175, v177, v175
	v_mul_f16_e32 v177, 0xb3a8, v114
	v_add_f16_e32 v51, v52, v51
	v_fma_f16 v52, v84, s14, v157
	v_fma_f16 v178, v113, s20, v177
	v_add_f16_e32 v51, v52, v51
	v_fma_f16 v52, v102, s21, v158
	v_add_f16_e32 v175, v178, v175
	v_mul_f16_e32 v178, 0x394e, v117
	v_add_f16_e32 v51, v52, v51
	v_fma_f16 v52, v105, s17, v159
	v_fma_f16 v179, v116, s16, v178
	v_add_f16_e32 v51, v52, v51
	v_fma_f16 v52, v106, s6, -v160
	v_add_f16_e32 v175, v179, v175
	v_mul_f16_e32 v179, 0x3bf1, v120
	v_add_f16_e32 v43, v53, v43
	v_add_f16_e32 v52, v42, v52
	v_fma_f16 v53, v110, s20, -v162
	v_fma_f16 v180, v119, s6, v179
	v_add_f16_e32 v52, v53, v52
	v_fma_f16 v53, v113, s13, -v163
	v_add_f16_e32 v175, v180, v175
	v_mul_f16_e32 v180, 0x3770, v123
	v_add_f16_e32 v52, v53, v52
	v_fma_f16 v53, v116, s5, -v164
	v_fma_f16 v181, v122, s5, v180
	v_mul_f16_e32 v54, 0x3b15, v54
	v_add_f16_e32 v52, v53, v52
	v_fma_f16 v53, v119, s19, -v165
	v_add_f16_e32 v175, v181, v175
	v_fma_f16 v181, v56, s14, v54
	v_mul_f16_e32 v58, 0x388b, v58
	v_add_f16_e32 v52, v53, v52
	v_fma_f16 v53, v122, s16, -v166
	v_add_f16_e32 v181, v37, v181
	v_fma_f16 v182, v60, s25, v58
	v_mul_f16_e32 v61, 0x2fb7, v61
	v_add_f16_e32 v44, v89, v37
	v_add_f16_e32 v52, v53, v52
	v_fma_f16 v53, v56, s21, v167
	v_fma_f16 v54, v56, s7, v54
	v_add_f16_e32 v181, v182, v181
	v_fma_f16 v182, v63, s18, v61
	v_mul_f16_e32 v64, 0xb5ac, v64
	v_add_f16_e32 v44, v90, v44
	v_add_f16_e32 v53, v37, v53
	v_fma_f16 v55, v60, s15, v169
	v_add_f16_e32 v37, v37, v54
	v_fma_f16 v54, v60, s21, v58
	v_add_f16_e32 v181, v182, v181
	v_fma_f16 v182, v84, s24, v64
	v_mul_f16_e32 v100, 0xb9fd, v100
	v_add_f16_e32 v44, v91, v44
	v_add_f16_e32 v53, v55, v53
	v_fma_f16 v55, v63, s22, v170
	v_add_f16_e32 v37, v54, v37
	v_fma_f16 v54, v63, s12, v61
	v_add_f16_e32 v181, v182, v181
	v_fma_f16 v182, v102, s23, v100
	v_mul_f16_e32 v103, 0xbbc4, v103
	v_add_f16_e32 v44, v93, v44
	v_add_f16_e32 v53, v55, v53
	v_fma_f16 v55, v84, s23, v171
	v_add_f16_e32 v37, v54, v37
	v_fma_f16 v54, v84, s15, v64
	v_add_f16_e32 v181, v182, v181
	v_fma_f16 v182, v105, s26, v103
	v_mul_f16_e32 v107, 0xb770, v107
	v_add_f16_e32 v44, v94, v44
	v_add_f16_e32 v53, v55, v53
	v_fma_f16 v55, v102, s18, v172
	v_add_f16_e32 v37, v54, v37
	v_fma_f16 v54, v102, s17, v100
	v_add_f16_e32 v181, v182, v181
	v_fma_f16 v182, v106, s5, v107
	v_mul_f16_e32 v111, 0xba95, v111
	v_add_f16_e32 v44, v92, v44
	v_add_f16_e32 v53, v55, v53
	v_fma_f16 v55, v105, s14, v173
	v_add_f16_e32 v37, v54, v37
	v_fma_f16 v54, v105, s22, v103
	v_add_f16_e32 v182, v42, v182
	v_fma_f16 v183, v110, s19, v111
	v_mul_f16_e32 v114, 0xbbf1, v114
	v_add_f16_e32 v44, v95, v44
	v_add_f16_e32 v53, v55, v53
	v_fma_f16 v55, v106, s19, -v174
	v_add_f16_e32 v37, v54, v37
	v_fma_f16 v54, v106, s5, -v107
	v_add_f16_e32 v182, v183, v182
	v_fma_f16 v183, v113, s6, v114
	v_mul_f16_e32 v117, 0xbb7b, v117
	v_add_f16_e32 v44, v96, v44
	v_add_f16_e32 v55, v42, v55
	;; [unrolled: 1-line block ×3, first 2 shown]
	v_fma_f16 v54, v110, s19, -v111
	v_add_f16_e32 v182, v183, v182
	v_fma_f16 v183, v116, s13, v117
	v_mul_f16_e32 v120, 0xb94e, v120
	v_add_f16_e32 v44, v98, v44
	v_add_f16_e32 v42, v54, v42
	v_fma_f16 v54, v113, s6, -v114
	v_add_f16_e32 v182, v183, v182
	v_fma_f16 v183, v119, s16, v120
	v_mul_f16_e32 v123, 0xb3a8, v123
	v_add_f16_e32 v44, v99, v44
	v_add_f16_e32 v42, v54, v42
	v_fma_f16 v54, v116, s13, -v117
	v_add_f16_e32 v182, v183, v182
	v_fma_f16 v183, v122, s20, v123
	v_add_f16_e32 v44, v97, v44
	v_add_f16_e32 v42, v54, v42
	v_fma_f16 v54, v119, s16, -v120
	v_add_f16_e32 v182, v183, v182
	v_add_f16_e32 v43, v83, v43
	;; [unrolled: 1-line block ×3, first 2 shown]
	v_fma_f16 v59, v110, s13, -v176
	v_add_f16_e32 v42, v54, v42
	v_fma_f16 v54, v122, s20, -v123
	v_add_f16_e32 v55, v59, v55
	;; [unrolled: 2-line block ×3, first 2 shown]
	v_lshl_add_u32 v54, v81, 2, v79
	v_pack_b32_f16 v56, v182, v181
	v_pack_b32_f16 v43, v43, v44
	v_add_f16_e32 v55, v59, v55
	v_fma_f16 v59, v116, s16, -v178
	ds_write2_b32 v54, v43, v56 offset1:1
	v_pack_b32_f16 v43, v161, v154
	v_pack_b32_f16 v44, v175, v168
	v_add_f16_e32 v55, v59, v55
	v_fma_f16 v59, v119, s6, -v179
	ds_write2_b32 v54, v44, v43 offset0:2 offset1:3
	v_pack_b32_f16 v43, v133, v126
	v_pack_b32_f16 v44, v147, v140
	v_add_f16_e32 v55, v59, v55
	v_fma_f16 v59, v122, s5, -v180
	ds_write2_b32 v54, v44, v43 offset0:4 offset1:5
	v_pack_b32_f16 v43, v46, v45
	v_pack_b32_f16 v44, v109, v57
	v_add_f16_e32 v55, v59, v55
	ds_write2_b32 v54, v44, v43 offset0:6 offset1:7
	v_pack_b32_f16 v43, v50, v49
	v_pack_b32_f16 v44, v48, v47
	ds_write2_b32 v54, v44, v43 offset0:8 offset1:9
	v_pack_b32_f16 v43, v55, v53
	v_pack_b32_f16 v44, v52, v51
	;; [unrolled: 1-line block ×3, first 2 shown]
	ds_write2_b32 v54, v44, v43 offset0:10 offset1:11
	ds_write_b32 v54, v37 offset:48
.LBB0_13:
	s_or_b64 exec, exec, s[0:1]
	s_waitcnt lgkmcnt(0)
	; wave barrier
	s_waitcnt lgkmcnt(0)
	ds_read2_b32 v[46:47], v41 offset1:13
	ds_read2_b32 v[42:43], v41 offset0:52 offset1:65
	ds_read2_b32 v[48:49], v41 offset0:130 offset1:143
	;; [unrolled: 1-line block ×3, first 2 shown]
	v_add_u32_e32 v37, 0x400, v41
	ds_read2_b32 v[52:53], v37 offset0:4 offset1:17
	s_waitcnt lgkmcnt(3)
	v_lshrrev_b32_e32 v81, 16, v43
	v_mul_f16_sdwa v110, v0, v81 dst_sel:DWORD dst_unused:UNUSED_PAD src0_sel:WORD_1 src1_sel:DWORD
	s_waitcnt lgkmcnt(2)
	v_lshrrev_b32_e32 v82, 16, v48
	v_fma_f16 v110, v0, v43, v110
	v_mul_f16_sdwa v43, v0, v43 dst_sel:DWORD dst_unused:UNUSED_PAD src0_sel:WORD_1 src1_sel:DWORD
	ds_read2_b32 v[54:55], v41 offset0:78 offset1:91
	v_fma_f16 v43, v0, v81, -v43
	v_mul_f16_sdwa v81, v1, v82 dst_sel:DWORD dst_unused:UNUSED_PAD src0_sel:WORD_1 src1_sel:DWORD
	s_waitcnt lgkmcnt(2)
	v_lshrrev_b32_e32 v83, 16, v51
	v_fma_f16 v81, v1, v48, v81
	v_mul_f16_sdwa v48, v1, v48 dst_sel:DWORD dst_unused:UNUSED_PAD src0_sel:WORD_1 src1_sel:DWORD
	v_fma_f16 v48, v1, v82, -v48
	v_mul_f16_sdwa v82, v2, v83 dst_sel:DWORD dst_unused:UNUSED_PAD src0_sel:WORD_1 src1_sel:DWORD
	s_waitcnt lgkmcnt(1)
	v_lshrrev_b32_e32 v84, 16, v52
	v_fma_f16 v82, v2, v51, v82
	v_mul_f16_sdwa v51, v2, v51 dst_sel:DWORD dst_unused:UNUSED_PAD src0_sel:WORD_1 src1_sel:DWORD
	ds_read2_b32 v[56:57], v41 offset0:208 offset1:221
	v_fma_f16 v51, v2, v83, -v51
	v_mul_f16_sdwa v83, v3, v84 dst_sel:DWORD dst_unused:UNUSED_PAD src0_sel:WORD_1 src1_sel:DWORD
	s_waitcnt lgkmcnt(1)
	v_lshrrev_b32_e32 v90, 16, v54
	v_fma_f16 v83, v3, v52, v83
	v_mul_f16_sdwa v52, v3, v52 dst_sel:DWORD dst_unused:UNUSED_PAD src0_sel:WORD_1 src1_sel:DWORD
	v_fma_f16 v52, v3, v84, -v52
	v_mul_f16_sdwa v84, v0, v90 dst_sel:DWORD dst_unused:UNUSED_PAD src0_sel:WORD_1 src1_sel:DWORD
	v_lshrrev_b32_e32 v91, 16, v49
	v_fma_f16 v84, v0, v54, v84
	v_mul_f16_sdwa v54, v0, v54 dst_sel:DWORD dst_unused:UNUSED_PAD src0_sel:WORD_1 src1_sel:DWORD
	v_fma_f16 v0, v0, v90, -v54
	v_mul_f16_sdwa v54, v1, v91 dst_sel:DWORD dst_unused:UNUSED_PAD src0_sel:WORD_1 src1_sel:DWORD
	s_waitcnt lgkmcnt(0)
	v_lshrrev_b32_e32 v92, 16, v56
	v_fma_f16 v54, v1, v49, v54
	v_mul_f16_sdwa v49, v1, v49 dst_sel:DWORD dst_unused:UNUSED_PAD src0_sel:WORD_1 src1_sel:DWORD
	ds_read2_b32 v[58:59], v41 offset0:156 offset1:169
	v_fma_f16 v1, v1, v91, -v49
	v_mul_f16_sdwa v49, v2, v92 dst_sel:DWORD dst_unused:UNUSED_PAD src0_sel:WORD_1 src1_sel:DWORD
	v_lshrrev_b32_e32 v93, 16, v53
	v_fma_f16 v49, v2, v56, v49
	v_mul_f16_sdwa v56, v2, v56 dst_sel:DWORD dst_unused:UNUSED_PAD src0_sel:WORD_1 src1_sel:DWORD
	v_fma_f16 v2, v2, v92, -v56
	v_mul_f16_sdwa v56, v3, v93 dst_sel:DWORD dst_unused:UNUSED_PAD src0_sel:WORD_1 src1_sel:DWORD
	v_lshrrev_b32_e32 v95, 16, v55
	v_fma_f16 v56, v3, v53, v56
	v_mul_f16_sdwa v53, v3, v53 dst_sel:DWORD dst_unused:UNUSED_PAD src0_sel:WORD_1 src1_sel:DWORD
	ds_read2_b32 v[60:61], v37 offset0:30 offset1:43
	v_fma_f16 v3, v3, v93, -v53
	v_mul_f16_sdwa v53, v4, v95 dst_sel:DWORD dst_unused:UNUSED_PAD src0_sel:WORD_1 src1_sel:DWORD
	s_waitcnt lgkmcnt(1)
	v_lshrrev_b32_e32 v96, 16, v58
	v_fma_f16 v53, v4, v55, v53
	v_mul_f16_sdwa v55, v4, v55 dst_sel:DWORD dst_unused:UNUSED_PAD src0_sel:WORD_1 src1_sel:DWORD
	ds_read2_b32 v[62:63], v41 offset0:104 offset1:117
	v_fma_f16 v4, v4, v95, -v55
	v_mul_f16_sdwa v55, v5, v96 dst_sel:DWORD dst_unused:UNUSED_PAD src0_sel:WORD_1 src1_sel:DWORD
	v_lshrrev_b32_e32 v97, 16, v57
	v_fma_f16 v55, v5, v58, v55
	v_mul_f16_sdwa v58, v5, v58 dst_sel:DWORD dst_unused:UNUSED_PAD src0_sel:WORD_1 src1_sel:DWORD
	v_fma_f16 v5, v5, v96, -v58
	v_mul_f16_sdwa v58, v6, v97 dst_sel:DWORD dst_unused:UNUSED_PAD src0_sel:WORD_1 src1_sel:DWORD
	s_waitcnt lgkmcnt(1)
	v_lshrrev_b32_e32 v98, 16, v60
	v_fma_f16 v58, v6, v57, v58
	v_mul_f16_sdwa v57, v6, v57 dst_sel:DWORD dst_unused:UNUSED_PAD src0_sel:WORD_1 src1_sel:DWORD
	ds_read2_b32 v[64:65], v41 offset0:234 offset1:247
	v_fma_f16 v6, v6, v97, -v57
	v_mul_f16_sdwa v57, v7, v98 dst_sel:DWORD dst_unused:UNUSED_PAD src0_sel:WORD_1 src1_sel:DWORD
	s_waitcnt lgkmcnt(1)
	v_lshrrev_b32_e32 v100, 16, v62
	v_fma_f16 v57, v7, v60, v57
	v_mul_f16_sdwa v60, v7, v60 dst_sel:DWORD dst_unused:UNUSED_PAD src0_sel:WORD_1 src1_sel:DWORD
	v_fma_f16 v7, v7, v98, -v60
	v_mul_f16_sdwa v60, v8, v100 dst_sel:DWORD dst_unused:UNUSED_PAD src0_sel:WORD_1 src1_sel:DWORD
	v_lshrrev_b32_e32 v101, 16, v59
	v_fma_f16 v60, v8, v62, v60
	v_mul_f16_sdwa v62, v8, v62 dst_sel:DWORD dst_unused:UNUSED_PAD src0_sel:WORD_1 src1_sel:DWORD
	v_fma_f16 v8, v8, v100, -v62
	v_mul_f16_sdwa v62, v9, v101 dst_sel:DWORD dst_unused:UNUSED_PAD src0_sel:WORD_1 src1_sel:DWORD
	s_waitcnt lgkmcnt(0)
	v_lshrrev_b32_e32 v102, 16, v64
	v_fma_f16 v62, v9, v59, v62
	v_mul_f16_sdwa v59, v9, v59 dst_sel:DWORD dst_unused:UNUSED_PAD src0_sel:WORD_1 src1_sel:DWORD
	v_fma_f16 v9, v9, v101, -v59
	v_mul_f16_sdwa v59, v10, v102 dst_sel:DWORD dst_unused:UNUSED_PAD src0_sel:WORD_1 src1_sel:DWORD
	v_lshrrev_b32_e32 v103, 16, v61
	v_fma_f16 v59, v10, v64, v59
	v_mul_f16_sdwa v64, v10, v64 dst_sel:DWORD dst_unused:UNUSED_PAD src0_sel:WORD_1 src1_sel:DWORD
	v_fma_f16 v10, v10, v102, -v64
	v_mul_f16_sdwa v64, v11, v103 dst_sel:DWORD dst_unused:UNUSED_PAD src0_sel:WORD_1 src1_sel:DWORD
	v_lshrrev_b32_e32 v106, 16, v63
	v_fma_f16 v64, v11, v61, v64
	v_mul_f16_sdwa v61, v11, v61 dst_sel:DWORD dst_unused:UNUSED_PAD src0_sel:WORD_1 src1_sel:DWORD
	ds_read_b32 v104, v41 offset:1248
	v_fma_f16 v11, v11, v103, -v61
	v_mul_f16_sdwa v61, v12, v106 dst_sel:DWORD dst_unused:UNUSED_PAD src0_sel:WORD_1 src1_sel:DWORD
	v_lshrrev_b32_e32 v107, 16, v50
	v_fma_f16 v61, v12, v63, v61
	v_mul_f16_sdwa v63, v12, v63 dst_sel:DWORD dst_unused:UNUSED_PAD src0_sel:WORD_1 src1_sel:DWORD
	v_fma_f16 v12, v12, v106, -v63
	v_mul_f16_sdwa v63, v13, v107 dst_sel:DWORD dst_unused:UNUSED_PAD src0_sel:WORD_1 src1_sel:DWORD
	v_lshrrev_b32_e32 v108, 16, v65
	v_fma_f16 v63, v13, v50, v63
	v_mul_f16_sdwa v50, v13, v50 dst_sel:DWORD dst_unused:UNUSED_PAD src0_sel:WORD_1 src1_sel:DWORD
	v_add_f16_e32 v91, v81, v82
	v_fma_f16 v13, v13, v107, -v50
	v_mul_f16_sdwa v50, v14, v108 dst_sel:DWORD dst_unused:UNUSED_PAD src0_sel:WORD_1 src1_sel:DWORD
	v_fma_f16 v91, v91, -0.5, v46
	v_sub_f16_e32 v92, v43, v52
	s_mov_b32 s1, 0xbb9c
	s_movk_i32 s6, 0x3b9c
	s_waitcnt lgkmcnt(0)
	v_lshrrev_b32_e32 v109, 16, v104
	v_fma_f16 v50, v14, v65, v50
	v_mul_f16_sdwa v65, v14, v65 dst_sel:DWORD dst_unused:UNUSED_PAD src0_sel:WORD_1 src1_sel:DWORD
	v_fma_f16 v93, v92, s1, v91
	v_sub_f16_e32 v95, v48, v51
	s_mov_b32 s0, 0xb8b4
	v_sub_f16_e32 v96, v110, v81
	v_sub_f16_e32 v97, v83, v82
	v_fma_f16 v91, v92, s6, v91
	s_movk_i32 s7, 0x38b4
	v_fma_f16 v14, v14, v108, -v65
	v_mul_f16_sdwa v65, v15, v109 dst_sel:DWORD dst_unused:UNUSED_PAD src0_sel:WORD_1 src1_sel:DWORD
	v_mul_f16_sdwa v90, v15, v104 dst_sel:DWORD dst_unused:UNUSED_PAD src0_sel:WORD_1 src1_sel:DWORD
	v_fma_f16 v93, v95, s0, v93
	v_add_f16_e32 v96, v96, v97
	s_movk_i32 s5, 0x34f2
	v_fma_f16 v91, v95, s7, v91
	v_fma_f16 v65, v15, v104, v65
	v_fma_f16 v15, v15, v109, -v90
	v_add_f16_e32 v90, v46, v110
	v_fma_f16 v93, v96, s5, v93
	v_fma_f16 v91, v96, s5, v91
	v_add_f16_e32 v96, v110, v83
	v_lshrrev_b32_e32 v79, 16, v46
	v_add_f16_e32 v90, v90, v81
	v_fma_f16 v46, v96, -0.5, v46
	v_add_f16_e32 v90, v90, v82
	v_fma_f16 v96, v95, s6, v46
	v_sub_f16_e32 v97, v81, v110
	v_sub_f16_e32 v98, v82, v83
	v_fma_f16 v46, v95, s1, v46
	v_add_f16_e32 v95, v48, v51
	v_add_f16_e32 v90, v90, v83
	v_fma_f16 v96, v92, s0, v96
	v_add_f16_e32 v97, v97, v98
	v_fma_f16 v46, v92, s7, v46
	v_fma_f16 v95, v95, -0.5, v79
	v_sub_f16_e32 v83, v110, v83
	v_fma_f16 v96, v97, s5, v96
	v_fma_f16 v46, v97, s5, v46
	;; [unrolled: 1-line block ×3, first 2 shown]
	v_sub_f16_e32 v81, v81, v82
	v_fma_f16 v82, v81, s7, v97
	v_sub_f16_e32 v97, v43, v48
	v_sub_f16_e32 v98, v52, v51
	v_fma_f16 v95, v83, s1, v95
	v_add_f16_e32 v92, v79, v43
	v_add_f16_e32 v97, v97, v98
	v_fma_f16 v95, v81, s0, v95
	v_add_f16_e32 v92, v92, v48
	v_fma_f16 v82, v97, s5, v82
	v_fma_f16 v95, v97, s5, v95
	v_add_f16_e32 v97, v43, v52
	v_add_f16_e32 v92, v92, v51
	v_fma_f16 v79, v97, -0.5, v79
	v_add_f16_e32 v92, v92, v52
	v_fma_f16 v97, v81, s1, v79
	v_sub_f16_e32 v43, v48, v43
	v_sub_f16_e32 v48, v51, v52
	v_add_f16_e32 v52, v54, v49
	v_fma_f16 v97, v83, s7, v97
	v_add_f16_e32 v43, v43, v48
	v_fma_f16 v51, v81, s6, v79
	v_fma_f16 v52, v52, -0.5, v47
	v_sub_f16_e32 v79, v0, v3
	v_fma_f16 v48, v43, s5, v97
	v_fma_f16 v51, v83, s0, v51
	;; [unrolled: 1-line block ×3, first 2 shown]
	v_sub_f16_e32 v83, v1, v2
	v_sub_f16_e32 v97, v84, v54
	;; [unrolled: 1-line block ×3, first 2 shown]
	v_fma_f16 v52, v79, s6, v52
	v_fma_f16 v81, v83, s0, v81
	v_add_f16_e32 v97, v97, v98
	v_fma_f16 v52, v83, s7, v52
	v_fma_f16 v43, v43, s5, v51
	v_add_f16_e32 v51, v47, v84
	;; [unrolled: 3-line block ×3, first 2 shown]
	v_lshrrev_b32_e32 v89, 16, v47
	v_add_f16_e32 v51, v51, v54
	v_fma_f16 v47, v97, -0.5, v47
	v_add_f16_e32 v51, v51, v49
	v_fma_f16 v97, v83, s6, v47
	v_fma_f16 v47, v83, s1, v47
	v_add_f16_e32 v83, v1, v2
	v_add_f16_e32 v51, v51, v56
	v_sub_f16_e32 v98, v54, v84
	v_sub_f16_e32 v100, v49, v56
	v_fma_f16 v83, v83, -0.5, v89
	v_sub_f16_e32 v56, v84, v56
	v_fma_f16 v97, v79, s0, v97
	v_add_f16_e32 v98, v98, v100
	v_fma_f16 v47, v79, s7, v47
	v_fma_f16 v84, v56, s6, v83
	v_sub_f16_e32 v49, v54, v49
	ds_read2_b32 v[44:45], v41 offset0:26 offset1:39
	v_fma_f16 v97, v98, s5, v97
	v_fma_f16 v47, v98, s5, v47
	;; [unrolled: 1-line block ×3, first 2 shown]
	v_sub_f16_e32 v84, v0, v1
	v_sub_f16_e32 v98, v3, v2
	v_fma_f16 v83, v56, s1, v83
	v_add_f16_e32 v79, v89, v0
	v_add_f16_e32 v84, v84, v98
	v_fma_f16 v83, v49, s0, v83
	v_add_f16_e32 v79, v79, v1
	v_fma_f16 v54, v84, s5, v54
	v_fma_f16 v83, v84, s5, v83
	v_add_f16_e32 v84, v0, v3
	v_add_f16_e32 v79, v79, v2
	v_fma_f16 v84, v84, -0.5, v89
	v_add_f16_e32 v79, v79, v3
	v_fma_f16 v89, v49, s1, v84
	v_sub_f16_e32 v0, v1, v0
	v_sub_f16_e32 v1, v2, v3
	v_add_f16_e32 v3, v55, v58
	v_fma_f16 v89, v56, s7, v89
	v_add_f16_e32 v0, v0, v1
	v_fma_f16 v2, v49, s6, v84
	s_waitcnt lgkmcnt(0)
	v_fma_f16 v3, v3, -0.5, v44
	v_sub_f16_e32 v49, v4, v7
	v_fma_f16 v1, v0, s5, v89
	v_fma_f16 v2, v56, s0, v2
	;; [unrolled: 1-line block ×3, first 2 shown]
	v_sub_f16_e32 v84, v5, v6
	v_sub_f16_e32 v89, v53, v55
	;; [unrolled: 1-line block ×3, first 2 shown]
	v_fma_f16 v3, v49, s6, v3
	v_fma_f16 v56, v84, s0, v56
	v_add_f16_e32 v89, v89, v98
	v_fma_f16 v3, v84, s7, v3
	v_fma_f16 v56, v89, s5, v56
	;; [unrolled: 1-line block ×3, first 2 shown]
	v_add_f16_e32 v89, v53, v57
	v_lshrrev_b32_e32 v94, 16, v44
	v_fma_f16 v0, v0, s5, v2
	v_add_f16_e32 v2, v44, v53
	v_fma_f16 v44, v89, -0.5, v44
	v_add_f16_e32 v2, v2, v55
	v_fma_f16 v89, v84, s6, v44
	v_sub_f16_e32 v98, v55, v53
	v_sub_f16_e32 v100, v58, v57
	v_fma_f16 v44, v84, s1, v44
	v_add_f16_e32 v84, v5, v6
	v_add_f16_e32 v2, v2, v58
	v_fma_f16 v89, v49, s0, v89
	v_add_f16_e32 v98, v98, v100
	v_fma_f16 v44, v49, s7, v44
	v_fma_f16 v84, v84, -0.5, v94
	v_sub_f16_e32 v53, v53, v57
	v_add_f16_e32 v2, v2, v57
	v_fma_f16 v89, v98, s5, v89
	v_fma_f16 v44, v98, s5, v44
	;; [unrolled: 1-line block ×3, first 2 shown]
	v_sub_f16_e32 v55, v55, v58
	v_sub_f16_e32 v58, v4, v5
	;; [unrolled: 1-line block ×3, first 2 shown]
	v_fma_f16 v84, v53, s1, v84
	v_add_f16_e32 v49, v94, v4
	v_fma_f16 v57, v55, s7, v57
	v_add_f16_e32 v58, v58, v98
	;; [unrolled: 2-line block ×3, first 2 shown]
	v_fma_f16 v57, v58, s5, v57
	v_fma_f16 v58, v58, s5, v84
	v_add_f16_e32 v84, v4, v7
	v_add_f16_e32 v49, v49, v6
	v_fma_f16 v84, v84, -0.5, v94
	v_add_f16_e32 v49, v49, v7
	v_fma_f16 v94, v55, s1, v84
	v_sub_f16_e32 v4, v5, v4
	v_sub_f16_e32 v5, v6, v7
	v_fma_f16 v6, v55, s6, v84
	v_add_f16_e32 v7, v62, v59
	v_fma_f16 v94, v53, s7, v94
	v_add_f16_e32 v4, v4, v5
	v_fma_f16 v6, v53, s0, v6
	v_fma_f16 v7, v7, -0.5, v45
	v_sub_f16_e32 v53, v8, v11
	v_fma_f16 v5, v4, s5, v94
	v_fma_f16 v55, v53, s1, v7
	v_sub_f16_e32 v84, v9, v10
	v_sub_f16_e32 v94, v60, v62
	;; [unrolled: 1-line block ×3, first 2 shown]
	v_fma_f16 v7, v53, s6, v7
	v_fma_f16 v55, v84, s0, v55
	v_add_f16_e32 v94, v94, v98
	v_fma_f16 v7, v84, s7, v7
	v_fma_f16 v55, v94, s5, v55
	;; [unrolled: 1-line block ×3, first 2 shown]
	v_add_f16_e32 v94, v60, v64
	v_lshrrev_b32_e32 v99, 16, v45
	v_fma_f16 v4, v4, s5, v6
	v_add_f16_e32 v6, v45, v60
	v_fma_f16 v45, v94, -0.5, v45
	v_add_f16_e32 v6, v6, v62
	v_fma_f16 v94, v84, s6, v45
	v_fma_f16 v45, v84, s1, v45
	v_add_f16_e32 v84, v9, v10
	v_add_f16_e32 v6, v6, v59
	v_sub_f16_e32 v98, v62, v60
	v_sub_f16_e32 v100, v59, v64
	v_fma_f16 v84, v84, -0.5, v99
	v_sub_f16_e32 v60, v60, v64
	v_add_f16_e32 v6, v6, v64
	v_fma_f16 v94, v53, s0, v94
	v_add_f16_e32 v98, v98, v100
	v_fma_f16 v45, v53, s7, v45
	v_fma_f16 v64, v60, s6, v84
	v_sub_f16_e32 v59, v62, v59
	v_fma_f16 v94, v98, s5, v94
	v_fma_f16 v45, v98, s5, v45
	;; [unrolled: 1-line block ×3, first 2 shown]
	v_sub_f16_e32 v64, v8, v9
	v_sub_f16_e32 v98, v11, v10
	v_fma_f16 v84, v60, s1, v84
	v_add_f16_e32 v53, v99, v8
	v_add_f16_e32 v64, v64, v98
	v_fma_f16 v84, v59, s0, v84
	v_add_f16_e32 v53, v53, v9
	v_fma_f16 v62, v64, s5, v62
	v_fma_f16 v64, v64, s5, v84
	v_add_f16_e32 v84, v8, v11
	v_add_f16_e32 v53, v53, v10
	v_fma_f16 v84, v84, -0.5, v99
	v_add_f16_e32 v53, v53, v11
	v_fma_f16 v98, v59, s1, v84
	v_sub_f16_e32 v8, v9, v8
	v_sub_f16_e32 v9, v10, v11
	v_add_f16_e32 v11, v63, v50
	v_fma_f16 v98, v60, s7, v98
	v_add_f16_e32 v8, v8, v9
	v_fma_f16 v10, v59, s6, v84
	v_fma_f16 v11, v11, -0.5, v42
	v_sub_f16_e32 v59, v12, v15
	v_fma_f16 v9, v8, s5, v98
	v_fma_f16 v10, v60, s0, v10
	;; [unrolled: 1-line block ×3, first 2 shown]
	v_sub_f16_e32 v84, v13, v14
	v_sub_f16_e32 v98, v61, v63
	;; [unrolled: 1-line block ×3, first 2 shown]
	v_fma_f16 v11, v59, s6, v11
	v_fma_f16 v60, v84, s0, v60
	v_add_f16_e32 v98, v98, v99
	v_fma_f16 v11, v84, s7, v11
	v_fma_f16 v60, v98, s5, v60
	v_fma_f16 v11, v98, s5, v11
	v_add_f16_e32 v98, v61, v65
	v_lshrrev_b32_e32 v105, 16, v42
	v_fma_f16 v8, v8, s5, v10
	v_add_f16_e32 v10, v42, v61
	v_fma_f16 v42, v98, -0.5, v42
	v_add_f16_e32 v10, v10, v63
	v_fma_f16 v98, v84, s6, v42
	v_fma_f16 v42, v84, s1, v42
	v_add_f16_e32 v84, v13, v14
	v_add_f16_e32 v10, v10, v50
	v_sub_f16_e32 v99, v63, v61
	v_sub_f16_e32 v100, v50, v65
	v_fma_f16 v84, v84, -0.5, v105
	v_sub_f16_e32 v61, v61, v65
	v_add_f16_e32 v10, v10, v65
	v_fma_f16 v98, v59, s0, v98
	v_add_f16_e32 v99, v99, v100
	v_fma_f16 v42, v59, s7, v42
	v_fma_f16 v65, v61, s6, v84
	v_sub_f16_e32 v50, v63, v50
	v_fma_f16 v98, v99, s5, v98
	v_fma_f16 v42, v99, s5, v42
	;; [unrolled: 1-line block ×3, first 2 shown]
	v_sub_f16_e32 v65, v12, v13
	v_sub_f16_e32 v99, v15, v14
	v_fma_f16 v84, v61, s1, v84
	v_add_f16_e32 v65, v65, v99
	v_fma_f16 v84, v50, s0, v84
	v_add_f16_e32 v59, v105, v12
	v_fma_f16 v63, v65, s5, v63
	v_fma_f16 v65, v65, s5, v84
	v_add_f16_e32 v84, v12, v15
	v_add_f16_e32 v59, v59, v13
	v_fma_f16 v84, v84, -0.5, v105
	v_add_f16_e32 v59, v59, v14
	v_fma_f16 v99, v50, s1, v84
	v_sub_f16_e32 v12, v13, v12
	v_sub_f16_e32 v13, v14, v15
	v_fma_f16 v14, v50, s6, v84
	v_fma_f16 v99, v61, s7, v99
	v_add_f16_e32 v12, v12, v13
	v_fma_f16 v14, v61, s0, v14
	v_add_f16_e32 v59, v59, v15
	v_fma_f16 v13, v12, s5, v99
	v_fma_f16 v12, v12, s5, v14
	v_pack_b32_f16 v14, v90, v92
	v_pack_b32_f16 v15, v93, v82
	s_waitcnt lgkmcnt(0)
	; wave barrier
	ds_write2_b32 v41, v14, v15 offset1:13
	v_pack_b32_f16 v14, v96, v48
	v_pack_b32_f16 v15, v46, v43
	ds_write2_b32 v41, v14, v15 offset0:26 offset1:39
	v_pack_b32_f16 v14, v91, v95
	v_pack_b32_f16 v15, v51, v79
	ds_write2_b32 v41, v14, v15 offset0:52 offset1:65
	;; [unrolled: 3-line block ×6, first 2 shown]
	v_pack_b32_f16 v0, v3, v58
	ds_write_b32 v85, v0 offset:728
	v_pack_b32_f16 v0, v6, v53
	v_pack_b32_f16 v1, v55, v62
	ds_write2_b32 v86, v0, v1 offset0:195 offset1:208
	v_pack_b32_f16 v0, v94, v9
	v_pack_b32_f16 v1, v45, v8
	ds_write2_b32 v86, v0, v1 offset0:221 offset1:234
	v_pack_b32_f16 v0, v7, v64
	ds_write_b32 v86, v0 offset:988
	v_pack_b32_f16 v0, v10, v59
	v_pack_b32_f16 v1, v60, v63
	v_add_u32_e32 v2, 0x400, v87
	ds_write2_b32 v2, v0, v1 offset0:4 offset1:17
	v_pack_b32_f16 v0, v98, v13
	v_pack_b32_f16 v1, v42, v12
	ds_write2_b32 v2, v0, v1 offset0:30 offset1:43
	v_pack_b32_f16 v0, v11, v65
	ds_write_b32 v87, v0 offset:1248
	s_waitcnt lgkmcnt(0)
	; wave barrier
	s_waitcnt lgkmcnt(0)
	ds_read2_b32 v[6:7], v41 offset1:13
	ds_read2_b32 v[2:3], v41 offset0:52 offset1:65
	ds_read2_b32 v[8:9], v41 offset0:130 offset1:143
	;; [unrolled: 1-line block ×6, first 2 shown]
	s_waitcnt lgkmcnt(5)
	v_lshrrev_b32_e32 v52, 16, v3
	v_mul_f16_sdwa v92, v16, v52 dst_sel:DWORD dst_unused:UNUSED_PAD src0_sel:WORD_1 src1_sel:DWORD
	s_waitcnt lgkmcnt(4)
	v_lshrrev_b32_e32 v53, 16, v8
	v_fma_f16 v92, v16, v3, v92
	v_mul_f16_sdwa v3, v16, v3 dst_sel:DWORD dst_unused:UNUSED_PAD src0_sel:WORD_1 src1_sel:DWORD
	v_fma_f16 v3, v16, v52, -v3
	v_mul_f16_sdwa v16, v17, v53 dst_sel:DWORD dst_unused:UNUSED_PAD src0_sel:WORD_1 src1_sel:DWORD
	s_waitcnt lgkmcnt(3)
	v_lshrrev_b32_e32 v54, 16, v11
	v_fma_f16 v16, v17, v8, v16
	v_mul_f16_sdwa v8, v17, v8 dst_sel:DWORD dst_unused:UNUSED_PAD src0_sel:WORD_1 src1_sel:DWORD
	v_fma_f16 v8, v17, v53, -v8
	;; [unrolled: 6-line block ×4, first 2 shown]
	v_mul_f16_sdwa v19, v20, v57 dst_sel:DWORD dst_unused:UNUSED_PAD src0_sel:WORD_1 src1_sel:DWORD
	v_lshrrev_b32_e32 v58, 16, v9
	v_fma_f16 v19, v20, v14, v19
	v_mul_f16_sdwa v14, v20, v14 dst_sel:DWORD dst_unused:UNUSED_PAD src0_sel:WORD_1 src1_sel:DWORD
	v_fma_f16 v14, v20, v57, -v14
	v_mul_f16_sdwa v20, v21, v58 dst_sel:DWORD dst_unused:UNUSED_PAD src0_sel:WORD_1 src1_sel:DWORD
	s_waitcnt lgkmcnt(0)
	v_lshrrev_b32_e32 v59, 16, v42
	v_fma_f16 v20, v21, v9, v20
	v_mul_f16_sdwa v9, v21, v9 dst_sel:DWORD dst_unused:UNUSED_PAD src0_sel:WORD_1 src1_sel:DWORD
	ds_read2_b32 v[44:45], v41 offset0:156 offset1:169
	v_fma_f16 v9, v21, v58, -v9
	v_mul_f16_sdwa v21, v22, v59 dst_sel:DWORD dst_unused:UNUSED_PAD src0_sel:WORD_1 src1_sel:DWORD
	v_lshrrev_b32_e32 v60, 16, v13
	v_fma_f16 v21, v22, v42, v21
	v_mul_f16_sdwa v42, v22, v42 dst_sel:DWORD dst_unused:UNUSED_PAD src0_sel:WORD_1 src1_sel:DWORD
	v_fma_f16 v22, v22, v59, -v42
	v_mul_f16_sdwa v42, v23, v60 dst_sel:DWORD dst_unused:UNUSED_PAD src0_sel:WORD_1 src1_sel:DWORD
	v_lshrrev_b32_e32 v62, 16, v15
	v_fma_f16 v42, v23, v13, v42
	v_mul_f16_sdwa v13, v23, v13 dst_sel:DWORD dst_unused:UNUSED_PAD src0_sel:WORD_1 src1_sel:DWORD
	ds_read2_b32 v[46:47], v37 offset0:30 offset1:43
	v_fma_f16 v13, v23, v60, -v13
	v_mul_f16_sdwa v23, v24, v62 dst_sel:DWORD dst_unused:UNUSED_PAD src0_sel:WORD_1 src1_sel:DWORD
	s_waitcnt lgkmcnt(1)
	v_lshrrev_b32_e32 v63, 16, v44
	v_fma_f16 v23, v24, v15, v23
	v_mul_f16_sdwa v15, v24, v15 dst_sel:DWORD dst_unused:UNUSED_PAD src0_sel:WORD_1 src1_sel:DWORD
	ds_read2_b32 v[48:49], v41 offset0:104 offset1:117
	v_fma_f16 v15, v24, v62, -v15
	v_mul_f16_sdwa v24, v25, v63 dst_sel:DWORD dst_unused:UNUSED_PAD src0_sel:WORD_1 src1_sel:DWORD
	v_lshrrev_b32_e32 v64, 16, v43
	v_fma_f16 v24, v25, v44, v24
	v_mul_f16_sdwa v44, v25, v44 dst_sel:DWORD dst_unused:UNUSED_PAD src0_sel:WORD_1 src1_sel:DWORD
	v_fma_f16 v25, v25, v63, -v44
	v_mul_f16_sdwa v44, v26, v64 dst_sel:DWORD dst_unused:UNUSED_PAD src0_sel:WORD_1 src1_sel:DWORD
	s_waitcnt lgkmcnt(1)
	v_lshrrev_b32_e32 v65, 16, v46
	v_fma_f16 v44, v26, v43, v44
	v_mul_f16_sdwa v43, v26, v43 dst_sel:DWORD dst_unused:UNUSED_PAD src0_sel:WORD_1 src1_sel:DWORD
	ds_read2_b32 v[50:51], v41 offset0:234 offset1:247
	v_fma_f16 v26, v26, v64, -v43
	v_mul_f16_sdwa v43, v27, v65 dst_sel:DWORD dst_unused:UNUSED_PAD src0_sel:WORD_1 src1_sel:DWORD
	s_waitcnt lgkmcnt(1)
	v_lshrrev_b32_e32 v81, 16, v48
	v_fma_f16 v43, v27, v46, v43
	v_mul_f16_sdwa v46, v27, v46 dst_sel:DWORD dst_unused:UNUSED_PAD src0_sel:WORD_1 src1_sel:DWORD
	v_fma_f16 v27, v27, v65, -v46
	v_mul_f16_sdwa v46, v28, v81 dst_sel:DWORD dst_unused:UNUSED_PAD src0_sel:WORD_1 src1_sel:DWORD
	v_lshrrev_b32_e32 v82, 16, v45
	v_fma_f16 v46, v28, v48, v46
	v_mul_f16_sdwa v48, v28, v48 dst_sel:DWORD dst_unused:UNUSED_PAD src0_sel:WORD_1 src1_sel:DWORD
	v_fma_f16 v28, v28, v81, -v48
	v_mul_f16_sdwa v48, v29, v82 dst_sel:DWORD dst_unused:UNUSED_PAD src0_sel:WORD_1 src1_sel:DWORD
	s_waitcnt lgkmcnt(0)
	v_lshrrev_b32_e32 v83, 16, v50
	v_fma_f16 v48, v29, v45, v48
	v_mul_f16_sdwa v45, v29, v45 dst_sel:DWORD dst_unused:UNUSED_PAD src0_sel:WORD_1 src1_sel:DWORD
	v_fma_f16 v29, v29, v82, -v45
	v_mul_f16_sdwa v45, v30, v83 dst_sel:DWORD dst_unused:UNUSED_PAD src0_sel:WORD_1 src1_sel:DWORD
	v_lshrrev_b32_e32 v84, 16, v47
	v_fma_f16 v45, v30, v50, v45
	v_mul_f16_sdwa v50, v30, v50 dst_sel:DWORD dst_unused:UNUSED_PAD src0_sel:WORD_1 src1_sel:DWORD
	v_fma_f16 v30, v30, v83, -v50
	v_mul_f16_sdwa v50, v31, v84 dst_sel:DWORD dst_unused:UNUSED_PAD src0_sel:WORD_1 src1_sel:DWORD
	v_lshrrev_b32_e32 v87, 16, v49
	v_fma_f16 v50, v31, v47, v50
	v_mul_f16_sdwa v47, v31, v47 dst_sel:DWORD dst_unused:UNUSED_PAD src0_sel:WORD_1 src1_sel:DWORD
	ds_read_b32 v85, v41 offset:1248
	v_fma_f16 v31, v31, v84, -v47
	v_mul_f16_sdwa v47, v32, v87 dst_sel:DWORD dst_unused:UNUSED_PAD src0_sel:WORD_1 src1_sel:DWORD
	v_lshrrev_b32_e32 v89, 16, v10
	v_fma_f16 v47, v32, v49, v47
	v_mul_f16_sdwa v49, v32, v49 dst_sel:DWORD dst_unused:UNUSED_PAD src0_sel:WORD_1 src1_sel:DWORD
	v_fma_f16 v32, v32, v87, -v49
	v_mul_f16_sdwa v49, v33, v89 dst_sel:DWORD dst_unused:UNUSED_PAD src0_sel:WORD_1 src1_sel:DWORD
	v_lshrrev_b32_e32 v90, 16, v51
	v_fma_f16 v49, v33, v10, v49
	v_mul_f16_sdwa v10, v33, v10 dst_sel:DWORD dst_unused:UNUSED_PAD src0_sel:WORD_1 src1_sel:DWORD
	v_add_f16_e32 v53, v16, v17
	v_fma_f16 v10, v33, v89, -v10
	v_mul_f16_sdwa v33, v34, v90 dst_sel:DWORD dst_unused:UNUSED_PAD src0_sel:WORD_1 src1_sel:DWORD
	v_fma_f16 v53, v53, -0.5, v6
	v_sub_f16_e32 v54, v3, v12
	s_waitcnt lgkmcnt(0)
	v_lshrrev_b32_e32 v91, 16, v85
	v_fma_f16 v33, v34, v51, v33
	v_mul_f16_sdwa v51, v34, v51 dst_sel:DWORD dst_unused:UNUSED_PAD src0_sel:WORD_1 src1_sel:DWORD
	v_fma_f16 v55, v54, s1, v53
	v_sub_f16_e32 v57, v8, v11
	v_sub_f16_e32 v58, v92, v16
	;; [unrolled: 1-line block ×3, first 2 shown]
	v_fma_f16 v53, v54, s6, v53
	v_fma_f16 v34, v34, v90, -v51
	v_mul_f16_sdwa v51, v35, v91 dst_sel:DWORD dst_unused:UNUSED_PAD src0_sel:WORD_1 src1_sel:DWORD
	v_mul_f16_sdwa v52, v35, v85 dst_sel:DWORD dst_unused:UNUSED_PAD src0_sel:WORD_1 src1_sel:DWORD
	v_fma_f16 v55, v57, s0, v55
	v_add_f16_e32 v58, v58, v59
	v_fma_f16 v53, v57, s7, v53
	v_fma_f16 v51, v35, v85, v51
	v_fma_f16 v35, v35, v91, -v52
	v_add_f16_e32 v52, v6, v92
	v_fma_f16 v55, v58, s5, v55
	v_fma_f16 v53, v58, s5, v53
	v_add_f16_e32 v58, v92, v18
	v_lshrrev_b32_e32 v1, 16, v6
	v_add_f16_e32 v52, v52, v16
	v_fma_f16 v6, v58, -0.5, v6
	v_add_f16_e32 v52, v52, v17
	v_fma_f16 v58, v57, s6, v6
	v_sub_f16_e32 v59, v16, v92
	v_sub_f16_e32 v60, v17, v18
	v_fma_f16 v6, v57, s1, v6
	v_add_f16_e32 v57, v8, v11
	v_add_f16_e32 v52, v52, v18
	v_fma_f16 v58, v54, s0, v58
	v_add_f16_e32 v59, v59, v60
	v_fma_f16 v6, v54, s7, v6
	v_fma_f16 v57, v57, -0.5, v1
	v_sub_f16_e32 v18, v92, v18
	v_fma_f16 v58, v59, s5, v58
	v_fma_f16 v6, v59, s5, v6
	;; [unrolled: 1-line block ×3, first 2 shown]
	v_sub_f16_e32 v16, v16, v17
	v_fma_f16 v17, v16, s7, v59
	v_sub_f16_e32 v59, v3, v8
	v_sub_f16_e32 v60, v12, v11
	v_fma_f16 v57, v18, s1, v57
	v_add_f16_e32 v59, v59, v60
	v_fma_f16 v57, v16, s0, v57
	v_add_f16_e32 v54, v1, v3
	v_fma_f16 v17, v59, s5, v17
	v_fma_f16 v57, v59, s5, v57
	v_add_f16_e32 v59, v3, v12
	v_add_f16_e32 v54, v54, v8
	v_fma_f16 v1, v59, -0.5, v1
	v_add_f16_e32 v54, v54, v11
	v_fma_f16 v59, v16, s1, v1
	v_sub_f16_e32 v3, v8, v3
	v_sub_f16_e32 v8, v11, v12
	v_add_f16_e32 v11, v20, v21
	v_add_f16_e32 v54, v54, v12
	v_fma_f16 v59, v18, s7, v59
	v_add_f16_e32 v3, v3, v8
	v_fma_f16 v1, v16, s6, v1
	v_fma_f16 v11, v11, -0.5, v7
	v_sub_f16_e32 v12, v14, v13
	v_fma_f16 v8, v3, s5, v59
	v_fma_f16 v1, v18, s0, v1
	v_fma_f16 v16, v12, s1, v11
	v_sub_f16_e32 v18, v9, v22
	v_sub_f16_e32 v59, v19, v20
	;; [unrolled: 1-line block ×3, first 2 shown]
	v_fma_f16 v11, v12, s6, v11
	v_fma_f16 v16, v18, s0, v16
	v_add_f16_e32 v59, v59, v60
	v_fma_f16 v11, v18, s7, v11
	v_fma_f16 v16, v59, s5, v16
	;; [unrolled: 1-line block ×3, first 2 shown]
	v_add_f16_e32 v59, v19, v42
	v_lshrrev_b32_e32 v56, 16, v7
	v_fma_f16 v1, v3, s5, v1
	v_add_f16_e32 v3, v7, v19
	v_fma_f16 v7, v59, -0.5, v7
	v_add_f16_e32 v3, v3, v20
	v_fma_f16 v59, v18, s6, v7
	v_fma_f16 v7, v18, s1, v7
	v_add_f16_e32 v18, v9, v22
	v_add_f16_e32 v3, v3, v21
	v_sub_f16_e32 v60, v20, v19
	v_sub_f16_e32 v62, v21, v42
	v_fma_f16 v18, v18, -0.5, v56
	v_sub_f16_e32 v19, v19, v42
	v_add_f16_e32 v3, v3, v42
	v_fma_f16 v59, v12, s0, v59
	v_add_f16_e32 v60, v60, v62
	v_fma_f16 v7, v12, s7, v7
	v_fma_f16 v42, v19, s6, v18
	v_sub_f16_e32 v20, v20, v21
	v_fma_f16 v59, v60, s5, v59
	v_fma_f16 v7, v60, s5, v7
	;; [unrolled: 1-line block ×3, first 2 shown]
	v_sub_f16_e32 v42, v14, v9
	v_sub_f16_e32 v60, v13, v22
	v_fma_f16 v18, v19, s1, v18
	ds_read2_b32 v[4:5], v41 offset0:26 offset1:39
	v_add_f16_e32 v42, v42, v60
	v_fma_f16 v18, v20, s0, v18
	v_add_f16_e32 v12, v56, v14
	v_fma_f16 v21, v42, s5, v21
	v_fma_f16 v18, v42, s5, v18
	v_add_f16_e32 v42, v14, v13
	v_add_f16_e32 v12, v12, v9
	v_fma_f16 v42, v42, -0.5, v56
	v_add_f16_e32 v12, v12, v22
	v_fma_f16 v56, v20, s1, v42
	v_sub_f16_e32 v9, v9, v14
	v_fma_f16 v14, v20, s6, v42
	v_add_f16_e32 v12, v12, v13
	v_fma_f16 v56, v19, s7, v56
	v_sub_f16_e32 v13, v22, v13
	v_fma_f16 v14, v19, s0, v14
	v_add_f16_e32 v19, v24, v44
	v_add_f16_e32 v9, v9, v13
	s_waitcnt lgkmcnt(0)
	v_fma_f16 v19, v19, -0.5, v4
	v_sub_f16_e32 v20, v15, v27
	v_fma_f16 v13, v9, s5, v56
	v_fma_f16 v22, v20, s1, v19
	v_sub_f16_e32 v42, v25, v26
	v_sub_f16_e32 v56, v23, v24
	;; [unrolled: 1-line block ×3, first 2 shown]
	v_fma_f16 v19, v20, s6, v19
	v_fma_f16 v22, v42, s0, v22
	v_add_f16_e32 v56, v56, v60
	v_fma_f16 v19, v42, s7, v19
	v_fma_f16 v22, v56, s5, v22
	;; [unrolled: 1-line block ×3, first 2 shown]
	v_add_f16_e32 v56, v23, v43
	v_lshrrev_b32_e32 v61, 16, v4
	v_fma_f16 v9, v9, s5, v14
	v_add_f16_e32 v14, v4, v23
	v_fma_f16 v4, v56, -0.5, v4
	v_add_f16_e32 v14, v14, v24
	v_fma_f16 v56, v42, s6, v4
	v_sub_f16_e32 v60, v24, v23
	v_sub_f16_e32 v62, v44, v43
	v_fma_f16 v4, v42, s1, v4
	v_add_f16_e32 v42, v25, v26
	v_add_f16_e32 v14, v14, v44
	v_fma_f16 v56, v20, s0, v56
	v_add_f16_e32 v60, v60, v62
	v_fma_f16 v4, v20, s7, v4
	v_fma_f16 v42, v42, -0.5, v61
	v_sub_f16_e32 v23, v23, v43
	v_add_f16_e32 v14, v14, v43
	v_fma_f16 v56, v60, s5, v56
	v_fma_f16 v4, v60, s5, v4
	;; [unrolled: 1-line block ×3, first 2 shown]
	v_sub_f16_e32 v24, v24, v44
	v_sub_f16_e32 v44, v15, v25
	;; [unrolled: 1-line block ×3, first 2 shown]
	v_fma_f16 v42, v23, s1, v42
	v_fma_f16 v43, v24, s7, v43
	v_add_f16_e32 v44, v44, v60
	v_fma_f16 v42, v24, s0, v42
	v_fma_f16 v43, v44, s5, v43
	;; [unrolled: 1-line block ×3, first 2 shown]
	v_add_f16_e32 v44, v15, v27
	v_fma_f16 v44, v44, -0.5, v61
	v_add_f16_e32 v20, v61, v15
	v_fma_f16 v60, v24, s1, v44
	v_fma_f16 v24, v24, s6, v44
	v_add_f16_e32 v20, v20, v25
	v_fma_f16 v60, v23, s7, v60
	v_sub_f16_e32 v15, v25, v15
	v_sub_f16_e32 v25, v26, v27
	v_fma_f16 v23, v23, s0, v24
	v_add_f16_e32 v24, v48, v45
	v_add_f16_e32 v20, v20, v26
	;; [unrolled: 1-line block ×3, first 2 shown]
	v_fma_f16 v24, v24, -0.5, v5
	v_sub_f16_e32 v26, v28, v31
	v_add_f16_e32 v20, v20, v27
	v_fma_f16 v25, v15, s5, v60
	v_fma_f16 v27, v26, s1, v24
	v_sub_f16_e32 v44, v29, v30
	v_sub_f16_e32 v60, v46, v48
	v_sub_f16_e32 v61, v50, v45
	v_fma_f16 v24, v26, s6, v24
	v_fma_f16 v27, v44, s0, v27
	v_add_f16_e32 v60, v60, v61
	v_fma_f16 v24, v44, s7, v24
	v_fma_f16 v27, v60, s5, v27
	;; [unrolled: 1-line block ×3, first 2 shown]
	v_add_f16_e32 v60, v46, v50
	v_lshrrev_b32_e32 v79, 16, v5
	v_fma_f16 v15, v15, s5, v23
	v_add_f16_e32 v23, v5, v46
	v_fma_f16 v5, v60, -0.5, v5
	v_add_f16_e32 v23, v23, v48
	v_fma_f16 v60, v44, s6, v5
	v_fma_f16 v5, v44, s1, v5
	v_add_f16_e32 v44, v29, v30
	v_add_f16_e32 v23, v23, v45
	v_sub_f16_e32 v61, v48, v46
	v_sub_f16_e32 v62, v45, v50
	v_fma_f16 v44, v44, -0.5, v79
	v_sub_f16_e32 v46, v46, v50
	v_add_f16_e32 v23, v23, v50
	v_fma_f16 v60, v26, s0, v60
	v_add_f16_e32 v61, v61, v62
	v_fma_f16 v5, v26, s7, v5
	v_fma_f16 v50, v46, s6, v44
	v_sub_f16_e32 v45, v48, v45
	v_fma_f16 v60, v61, s5, v60
	v_fma_f16 v5, v61, s5, v5
	;; [unrolled: 1-line block ×3, first 2 shown]
	v_sub_f16_e32 v50, v28, v29
	v_sub_f16_e32 v61, v31, v30
	v_fma_f16 v44, v46, s1, v44
	v_add_f16_e32 v26, v79, v28
	v_add_f16_e32 v50, v50, v61
	v_fma_f16 v44, v45, s0, v44
	v_add_f16_e32 v26, v26, v29
	v_fma_f16 v48, v50, s5, v48
	v_fma_f16 v44, v50, s5, v44
	v_add_f16_e32 v50, v28, v31
	v_add_f16_e32 v26, v26, v30
	v_fma_f16 v50, v50, -0.5, v79
	v_add_f16_e32 v26, v26, v31
	v_fma_f16 v61, v45, s1, v50
	v_sub_f16_e32 v28, v29, v28
	v_sub_f16_e32 v29, v30, v31
	v_add_f16_e32 v31, v49, v33
	v_fma_f16 v61, v46, s7, v61
	v_add_f16_e32 v28, v28, v29
	v_fma_f16 v30, v45, s6, v50
	v_fma_f16 v31, v31, -0.5, v2
	v_sub_f16_e32 v45, v32, v35
	v_fma_f16 v29, v28, s5, v61
	v_fma_f16 v30, v46, s0, v30
	;; [unrolled: 1-line block ×3, first 2 shown]
	v_sub_f16_e32 v50, v10, v34
	v_sub_f16_e32 v61, v47, v49
	;; [unrolled: 1-line block ×3, first 2 shown]
	v_fma_f16 v31, v45, s6, v31
	v_fma_f16 v46, v50, s0, v46
	v_add_f16_e32 v61, v61, v62
	v_fma_f16 v31, v50, s7, v31
	v_fma_f16 v46, v61, s5, v46
	;; [unrolled: 1-line block ×3, first 2 shown]
	v_add_f16_e32 v61, v47, v51
	v_lshrrev_b32_e32 v86, 16, v2
	v_fma_f16 v28, v28, s5, v30
	v_add_f16_e32 v30, v2, v47
	v_fma_f16 v2, v61, -0.5, v2
	v_add_f16_e32 v30, v30, v49
	v_fma_f16 v61, v50, s6, v2
	v_fma_f16 v2, v50, s1, v2
	v_add_f16_e32 v50, v10, v34
	v_add_f16_e32 v30, v30, v33
	v_sub_f16_e32 v62, v49, v47
	v_sub_f16_e32 v63, v33, v51
	v_fma_f16 v50, v50, -0.5, v86
	v_sub_f16_e32 v47, v47, v51
	v_add_f16_e32 v30, v30, v51
	v_fma_f16 v61, v45, s0, v61
	v_add_f16_e32 v62, v62, v63
	v_fma_f16 v2, v45, s7, v2
	v_fma_f16 v51, v47, s6, v50
	v_sub_f16_e32 v33, v49, v33
	v_fma_f16 v61, v62, s5, v61
	v_fma_f16 v2, v62, s5, v2
	;; [unrolled: 1-line block ×3, first 2 shown]
	v_sub_f16_e32 v51, v32, v10
	v_sub_f16_e32 v62, v35, v34
	v_fma_f16 v50, v47, s1, v50
	v_add_f16_e32 v51, v51, v62
	v_fma_f16 v50, v33, s0, v50
	v_fma_f16 v49, v51, s5, v49
	;; [unrolled: 1-line block ×3, first 2 shown]
	v_add_f16_e32 v51, v32, v35
	v_add_f16_e32 v45, v86, v32
	v_fma_f16 v51, v51, -0.5, v86
	v_add_f16_e32 v45, v45, v10
	v_fma_f16 v62, v33, s1, v51
	v_sub_f16_e32 v10, v10, v32
	v_sub_f16_e32 v32, v34, v35
	v_fma_f16 v33, v33, s6, v51
	v_fma_f16 v62, v47, s7, v62
	v_add_f16_e32 v10, v10, v32
	v_fma_f16 v33, v47, s0, v33
	v_fma_f16 v32, v10, s5, v62
	;; [unrolled: 1-line block ×3, first 2 shown]
	v_pack_b32_f16 v33, v52, v54
	v_pack_b32_f16 v1, v6, v1
	;; [unrolled: 1-line block ×3, first 2 shown]
	ds_write_b32 v41, v33
	v_pack_b32_f16 v6, v53, v57
	ds_write2_b32 v80, v1, v7 offset0:195 offset1:208
	v_pack_b32_f16 v1, v11, v18
	v_add_u32_e32 v7, 0x400, v80
	v_pack_b32_f16 v3, v3, v12
	ds_write2_b32 v7, v6, v1 offset0:4 offset1:17
	v_pack_b32_f16 v1, v14, v20
	ds_write2_b32 v80, v3, v1 offset0:13 offset1:26
	v_pack_b32_f16 v1, v22, v43
	v_pack_b32_f16 v9, v27, v48
	;; [unrolled: 1-line block ×3, first 2 shown]
	ds_write2_b32 v80, v1, v9 offset0:91 offset1:104
	v_pack_b32_f16 v1, v60, v29
	v_add_f16_e32 v45, v45, v34
	v_pack_b32_f16 v17, v55, v17
	v_pack_b32_f16 v12, v16, v21
	;; [unrolled: 1-line block ×3, first 2 shown]
	ds_write2_b32 v80, v3, v1 offset0:156 offset1:169
	v_pack_b32_f16 v1, v5, v28
	v_add_f16_e32 v45, v45, v35
	v_pack_b32_f16 v8, v58, v8
	ds_write2_b32 v80, v17, v12 offset0:65 offset1:78
	v_pack_b32_f16 v12, v59, v13
	v_pack_b32_f16 v6, v19, v42
	ds_write2_b32 v80, v4, v1 offset0:221 offset1:234
	v_pack_b32_f16 v1, v24, v44
	ds_write2_b32 v80, v8, v12 offset0:130 offset1:143
	;; [unrolled: 2-line block ×4, first 2 shown]
	v_pack_b32_f16 v1, v46, v49
	v_pack_b32_f16 v3, v61, v32
	ds_write2_b32 v88, v1, v3 offset0:65 offset1:130
	v_pack_b32_f16 v1, v2, v10
	v_pack_b32_f16 v2, v31, v50
	v_add_u32_e32 v3, 0x200, v88
	ds_write2_b32 v3, v1, v2 offset0:67 offset1:132
	s_waitcnt lgkmcnt(0)
	; wave barrier
	s_waitcnt lgkmcnt(0)
	ds_read2_b32 v[2:3], v41 offset1:25
	v_mad_u64_u32 v[6:7], s[0:1], s10, v40, 0
	v_mov_b32_e32 v4, v7
	s_mov_b32 s6, 0x7f9b2ce6
	s_waitcnt lgkmcnt(0)
	v_lshrrev_b32_e32 v8, 16, v2
	v_mul_f16_sdwa v5, v78, v8 dst_sel:DWORD dst_unused:UNUSED_PAD src0_sel:WORD_1 src1_sel:DWORD
	v_fma_f16 v5, v78, v2, v5
	v_cvt_f32_f16_e32 v9, v5
	v_mad_u64_u32 v[4:5], s[0:1], s11, v40, v[4:5]
	v_mov_b32_e32 v7, v4
	v_cvt_f64_f32_e32 v[4:5], v9
	s_mov_b32 s7, 0x3f6934c6
	v_mul_f64 v[4:5], v[4:5], s[6:7]
	s_movk_i32 s15, 0x1ff
	v_and_or_b32 v4, v5, s15, v4
	v_cmp_ne_u32_e64 s[0:1], 0, v4
	v_lshrrev_b32_e32 v9, 8, v5
	s_movk_i32 s14, 0xffe
	v_cndmask_b32_e64 v4, 0, 1, s[0:1]
	v_bfe_u32 v10, v5, 20, 11
	v_and_or_b32 v9, v9, s14, v4
	v_sub_u32_e32 v11, 0x3f1, v10
	v_or_b32_e32 v4, 0x1000, v9
	v_med3_i32 v11, v11, 0, 13
	v_lshrrev_b32_e32 v12, v11, v4
	v_lshlrev_b32_e32 v11, v11, v12
	v_cmp_ne_u32_e64 s[0:1], v11, v4
	v_add_u32_e32 v10, 0xfffffc10, v10
	v_lshl_or_b32 v11, v10, 12, v9
	v_cndmask_b32_e64 v4, 0, 1, s[0:1]
	v_or_b32_e32 v4, v12, v4
	v_cmp_gt_i32_e64 s[0:1], 1, v10
	v_mov_b32_e32 v0, s2
	v_mov_b32_e32 v1, s3
	v_cndmask_b32_e64 v4, v11, v4, s[0:1]
	v_and_b32_e32 v11, 7, v4
	v_cmp_lt_i32_e64 s[0:1], 5, v11
	v_cmp_eq_u32_e64 s[2:3], 3, v11
	v_lshrrev_b32_e32 v4, 2, v4
	s_or_b64 s[0:1], s[2:3], s[0:1]
	v_mul_f16_sdwa v2, v78, v2 dst_sel:DWORD dst_unused:UNUSED_PAD src0_sel:WORD_1 src1_sel:DWORD
	v_addc_co_u32_e64 v11, s[0:1], 0, v4, s[0:1]
	v_fma_f16 v2, v78, v8, -v2
	v_mov_b32_e32 v4, 0x7c00
	v_cmp_gt_i32_e64 s[0:1], 31, v10
	v_cvt_f32_f16_e32 v2, v2
	s_movk_i32 s12, 0x40f
	v_cndmask_b32_e64 v11, v4, v11, s[0:1]
	v_cmp_ne_u32_e64 s[0:1], 0, v9
	s_mov_b32 s13, 0x8000
	v_and_b32_sdwa v5, v5, s13 dst_sel:DWORD dst_unused:UNUSED_PAD src0_sel:WORD_1 src1_sel:DWORD
	v_cndmask_b32_e64 v9, 0, 1, s[0:1]
	v_lshl_or_b32 v9, v9, 9, v4
	v_cmp_eq_u32_e64 s[0:1], s12, v10
	v_lshl_add_u64 v[0:1], v[6:7], 2, v[0:1]
	s_nop 0
	v_cndmask_b32_e64 v12, v11, v9, s[0:1]
	v_cvt_f64_f32_e32 v[8:9], v2
	v_mul_f64 v[8:9], v[8:9], s[6:7]
	v_and_or_b32 v2, v9, s15, v8
	v_cmp_ne_u32_e64 s[0:1], 0, v2
	v_lshrrev_b32_e32 v8, 8, v9
	v_bfe_u32 v10, v9, 20, 11
	v_cndmask_b32_e64 v2, 0, 1, s[0:1]
	v_and_or_b32 v2, v8, s14, v2
	v_sub_u32_e32 v11, 0x3f1, v10
	v_or_b32_e32 v8, 0x1000, v2
	v_med3_i32 v11, v11, 0, 13
	v_lshrrev_b32_e32 v13, v11, v8
	v_lshlrev_b32_e32 v11, v11, v13
	v_cmp_ne_u32_e64 s[0:1], v11, v8
	v_add_u32_e32 v10, 0xfffffc10, v10
	v_lshl_or_b32 v11, v10, 12, v2
	v_cndmask_b32_e64 v8, 0, 1, s[0:1]
	v_or_b32_e32 v8, v13, v8
	v_cmp_gt_i32_e64 s[0:1], 1, v10
	s_nop 1
	v_cndmask_b32_e64 v8, v11, v8, s[0:1]
	v_and_b32_e32 v11, 7, v8
	v_cmp_lt_i32_e64 s[0:1], 5, v11
	v_cmp_eq_u32_e64 s[2:3], 3, v11
	v_lshrrev_b32_e32 v8, 2, v8
	s_or_b64 s[0:1], s[2:3], s[0:1]
	v_addc_co_u32_e64 v8, s[0:1], 0, v8, s[0:1]
	v_cmp_gt_i32_e64 s[0:1], 31, v10
	s_nop 1
	v_cndmask_b32_e64 v8, v4, v8, s[0:1]
	v_cmp_ne_u32_e64 s[0:1], 0, v2
	s_nop 1
	v_cndmask_b32_e64 v2, 0, 1, s[0:1]
	v_lshl_or_b32 v2, v2, 9, v4
	v_cmp_eq_u32_e64 s[0:1], s12, v10
	s_nop 1
	v_cndmask_b32_e64 v2, v8, v2, s[0:1]
	v_lshrrev_b32_e32 v8, 16, v9
	v_and_or_b32 v13, v8, s13, v2
	v_mad_u64_u32 v[8:9], s[0:1], s8, v36, 0
	v_mov_b32_e32 v2, v9
	v_mad_u64_u32 v[10:11], s[0:1], s9, v36, v[2:3]
	v_bitop3_b32 v2, v5, s4, v12 bitop3:0xc8
	v_lshrrev_b32_e32 v5, 16, v3
	v_mov_b32_e32 v9, v10
	v_mul_f16_sdwa v10, v77, v5 dst_sel:DWORD dst_unused:UNUSED_PAD src0_sel:WORD_1 src1_sel:DWORD
	v_fma_f16 v10, v77, v3, v10
	v_cvt_f32_f16_e32 v10, v10
	v_lshl_add_u64 v[6:7], v[8:9], 2, v[0:1]
	v_lshl_or_b32 v2, v13, 16, v2
	global_store_dword v[6:7], v2, off
	v_cvt_f64_f32_e32 v[8:9], v10
	v_mul_f64 v[8:9], v[8:9], s[6:7]
	v_and_or_b32 v2, v9, s15, v8
	v_cmp_ne_u32_e64 s[0:1], 0, v2
	v_lshrrev_b32_e32 v8, 8, v9
	v_bfe_u32 v10, v9, 20, 11
	v_cndmask_b32_e64 v2, 0, 1, s[0:1]
	v_and_or_b32 v2, v8, s14, v2
	v_sub_u32_e32 v11, 0x3f1, v10
	v_or_b32_e32 v8, 0x1000, v2
	v_med3_i32 v11, v11, 0, 13
	v_lshrrev_b32_e32 v12, v11, v8
	v_lshlrev_b32_e32 v11, v11, v12
	v_cmp_ne_u32_e64 s[0:1], v11, v8
	v_add_u32_e32 v10, 0xfffffc10, v10
	v_lshl_or_b32 v11, v10, 12, v2
	v_cndmask_b32_e64 v8, 0, 1, s[0:1]
	v_or_b32_e32 v8, v12, v8
	v_cmp_gt_i32_e64 s[0:1], 1, v10
	v_mul_f16_sdwa v3, v77, v3 dst_sel:DWORD dst_unused:UNUSED_PAD src0_sel:WORD_1 src1_sel:DWORD
	v_fma_f16 v3, v77, v5, -v3
	v_cndmask_b32_e64 v8, v11, v8, s[0:1]
	v_and_b32_e32 v11, 7, v8
	v_cmp_lt_i32_e64 s[0:1], 5, v11
	v_cmp_eq_u32_e64 s[2:3], 3, v11
	v_lshrrev_b32_e32 v8, 2, v8
	s_or_b64 s[0:1], s[2:3], s[0:1]
	v_addc_co_u32_e64 v8, s[0:1], 0, v8, s[0:1]
	v_cmp_gt_i32_e64 s[0:1], 31, v10
	v_cvt_f32_f16_e32 v3, v3
	s_nop 0
	v_cndmask_b32_e64 v8, v4, v8, s[0:1]
	v_cmp_ne_u32_e64 s[0:1], 0, v2
	s_nop 1
	v_cndmask_b32_e64 v2, 0, 1, s[0:1]
	v_lshl_or_b32 v2, v2, 9, v4
	v_cmp_eq_u32_e64 s[0:1], s12, v10
	s_nop 1
	v_cndmask_b32_e64 v5, v8, v2, s[0:1]
	v_cvt_f64_f32_e32 v[2:3], v3
	v_mul_f64 v[2:3], v[2:3], s[6:7]
	v_and_or_b32 v2, v3, s15, v2
	v_cmp_ne_u32_e64 s[0:1], 0, v2
	v_and_b32_sdwa v8, v9, s13 dst_sel:DWORD dst_unused:UNUSED_PAD src0_sel:WORD_1 src1_sel:DWORD
	v_lshrrev_b32_e32 v9, 8, v3
	v_cndmask_b32_e64 v2, 0, 1, s[0:1]
	v_bfe_u32 v10, v3, 20, 11
	v_and_or_b32 v2, v9, s14, v2
	v_sub_u32_e32 v11, 0x3f1, v10
	v_or_b32_e32 v9, 0x1000, v2
	v_med3_i32 v11, v11, 0, 13
	v_lshrrev_b32_e32 v12, v11, v9
	v_lshlrev_b32_e32 v11, v11, v12
	v_cmp_ne_u32_e64 s[0:1], v11, v9
	v_add_u32_e32 v10, 0xfffffc10, v10
	v_lshl_or_b32 v11, v10, 12, v2
	v_cndmask_b32_e64 v9, 0, 1, s[0:1]
	v_or_b32_e32 v9, v12, v9
	v_cmp_gt_i32_e64 s[0:1], 1, v10
	v_lshrrev_b32_e32 v3, 16, v3
	v_bitop3_b32 v5, v8, s4, v5 bitop3:0xc8
	v_cndmask_b32_e64 v9, v11, v9, s[0:1]
	v_and_b32_e32 v11, 7, v9
	v_cmp_lt_i32_e64 s[0:1], 5, v11
	v_cmp_eq_u32_e64 s[2:3], 3, v11
	v_lshrrev_b32_e32 v9, 2, v9
	s_or_b64 s[0:1], s[2:3], s[0:1]
	v_addc_co_u32_e64 v9, s[0:1], 0, v9, s[0:1]
	v_cmp_gt_i32_e64 s[0:1], 31, v10
	s_nop 1
	v_cndmask_b32_e64 v9, v4, v9, s[0:1]
	v_cmp_ne_u32_e64 s[0:1], 0, v2
	s_nop 1
	v_cndmask_b32_e64 v2, 0, 1, s[0:1]
	v_lshl_or_b32 v2, v2, 9, v4
	v_cmp_eq_u32_e64 s[0:1], s12, v10
	s_nop 1
	v_cndmask_b32_e64 v2, v9, v2, s[0:1]
	v_and_or_b32 v9, v3, s13, v2
	ds_read2_b32 v[2:3], v41 offset0:50 offset1:75
	s_mul_i32 s0, s9, 25
	s_mul_hi_u32 s1, s8, 25
	s_add_i32 s1, s1, s0
	s_mul_i32 s0, s8, 25
	s_waitcnt lgkmcnt(0)
	v_lshrrev_b32_e32 v10, 16, v2
	v_mul_f16_sdwa v8, v76, v10 dst_sel:DWORD dst_unused:UNUSED_PAD src0_sel:WORD_1 src1_sel:DWORD
	v_fma_f16 v8, v76, v2, v8
	v_cvt_f32_f16_e32 v8, v8
	v_lshl_or_b32 v5, v9, 16, v5
	s_lshl_b64 s[10:11], s[0:1], 2
	v_lshl_add_u64 v[6:7], v[6:7], 0, s[10:11]
	v_cvt_f64_f32_e32 v[8:9], v8
	v_mul_f64 v[8:9], v[8:9], s[6:7]
	global_store_dword v[6:7], v5, off
	v_and_or_b32 v5, v9, s15, v8
	v_cmp_ne_u32_e64 s[0:1], 0, v5
	v_lshrrev_b32_e32 v8, 8, v9
	v_bfe_u32 v11, v9, 20, 11
	v_cndmask_b32_e64 v5, 0, 1, s[0:1]
	v_and_or_b32 v5, v8, s14, v5
	v_sub_u32_e32 v12, 0x3f1, v11
	v_or_b32_e32 v8, 0x1000, v5
	v_med3_i32 v12, v12, 0, 13
	v_lshrrev_b32_e32 v13, v12, v8
	v_lshlrev_b32_e32 v12, v12, v13
	v_cmp_ne_u32_e64 s[0:1], v12, v8
	v_add_u32_e32 v11, 0xfffffc10, v11
	v_lshl_or_b32 v12, v11, 12, v5
	v_cndmask_b32_e64 v8, 0, 1, s[0:1]
	v_or_b32_e32 v8, v13, v8
	v_cmp_gt_i32_e64 s[0:1], 1, v11
	v_mul_f16_sdwa v2, v76, v2 dst_sel:DWORD dst_unused:UNUSED_PAD src0_sel:WORD_1 src1_sel:DWORD
	v_fma_f16 v2, v76, v10, -v2
	v_cndmask_b32_e64 v8, v12, v8, s[0:1]
	v_and_b32_e32 v12, 7, v8
	v_cmp_lt_i32_e64 s[0:1], 5, v12
	v_cmp_eq_u32_e64 s[2:3], 3, v12
	v_lshrrev_b32_e32 v8, 2, v8
	s_or_b64 s[0:1], s[2:3], s[0:1]
	v_addc_co_u32_e64 v8, s[0:1], 0, v8, s[0:1]
	v_cmp_gt_i32_e64 s[0:1], 31, v11
	v_cvt_f32_f16_e32 v2, v2
	v_and_b32_sdwa v10, v9, s13 dst_sel:DWORD dst_unused:UNUSED_PAD src0_sel:WORD_1 src1_sel:DWORD
	v_cndmask_b32_e64 v8, v4, v8, s[0:1]
	v_cmp_ne_u32_e64 s[0:1], 0, v5
	v_lshl_add_u64 v[6:7], v[6:7], 0, s[10:11]
	s_nop 0
	v_cndmask_b32_e64 v5, 0, 1, s[0:1]
	v_lshl_or_b32 v5, v5, 9, v4
	v_cmp_eq_u32_e64 s[0:1], s12, v11
	s_nop 1
	v_cndmask_b32_e64 v5, v8, v5, s[0:1]
	v_cvt_f64_f32_e32 v[8:9], v2
	v_mul_f64 v[8:9], v[8:9], s[6:7]
	v_and_or_b32 v2, v9, s15, v8
	v_cmp_ne_u32_e64 s[0:1], 0, v2
	v_lshrrev_b32_e32 v8, 8, v9
	v_bfe_u32 v11, v9, 20, 11
	v_cndmask_b32_e64 v2, 0, 1, s[0:1]
	v_and_or_b32 v2, v8, s14, v2
	v_sub_u32_e32 v12, 0x3f1, v11
	v_or_b32_e32 v8, 0x1000, v2
	v_med3_i32 v12, v12, 0, 13
	v_lshrrev_b32_e32 v13, v12, v8
	v_lshlrev_b32_e32 v12, v12, v13
	v_cmp_ne_u32_e64 s[0:1], v12, v8
	v_add_u32_e32 v11, 0xfffffc10, v11
	v_lshl_or_b32 v12, v11, 12, v2
	v_cndmask_b32_e64 v8, 0, 1, s[0:1]
	v_or_b32_e32 v8, v13, v8
	v_cmp_gt_i32_e64 s[0:1], 1, v11
	v_bitop3_b32 v5, v10, s4, v5 bitop3:0xc8
	v_lshrrev_b32_e32 v10, 16, v3
	v_cndmask_b32_e64 v8, v12, v8, s[0:1]
	v_and_b32_e32 v12, 7, v8
	v_cmp_lt_i32_e64 s[0:1], 5, v12
	v_cmp_eq_u32_e64 s[2:3], 3, v12
	v_lshrrev_b32_e32 v8, 2, v8
	s_or_b64 s[0:1], s[2:3], s[0:1]
	v_addc_co_u32_e64 v8, s[0:1], 0, v8, s[0:1]
	v_cmp_gt_i32_e64 s[0:1], 31, v11
	s_nop 1
	v_cndmask_b32_e64 v8, v4, v8, s[0:1]
	v_cmp_ne_u32_e64 s[0:1], 0, v2
	s_nop 1
	v_cndmask_b32_e64 v2, 0, 1, s[0:1]
	v_lshl_or_b32 v2, v2, 9, v4
	v_cmp_eq_u32_e64 s[0:1], s12, v11
	s_nop 1
	v_cndmask_b32_e64 v2, v8, v2, s[0:1]
	v_lshrrev_b32_e32 v8, 16, v9
	v_and_or_b32 v2, v8, s13, v2
	v_mul_f16_sdwa v8, v75, v10 dst_sel:DWORD dst_unused:UNUSED_PAD src0_sel:WORD_1 src1_sel:DWORD
	v_fma_f16 v8, v75, v3, v8
	v_cvt_f32_f16_e32 v8, v8
	v_lshl_or_b32 v2, v2, 16, v5
	global_store_dword v[6:7], v2, off
	v_mul_f16_sdwa v3, v75, v3 dst_sel:DWORD dst_unused:UNUSED_PAD src0_sel:WORD_1 src1_sel:DWORD
	v_cvt_f64_f32_e32 v[8:9], v8
	v_mul_f64 v[8:9], v[8:9], s[6:7]
	v_and_or_b32 v2, v9, s15, v8
	v_cmp_ne_u32_e64 s[0:1], 0, v2
	v_lshrrev_b32_e32 v5, 8, v9
	v_bfe_u32 v8, v9, 20, 11
	v_cndmask_b32_e64 v2, 0, 1, s[0:1]
	v_and_or_b32 v2, v5, s14, v2
	v_sub_u32_e32 v11, 0x3f1, v8
	v_or_b32_e32 v5, 0x1000, v2
	v_med3_i32 v11, v11, 0, 13
	v_lshrrev_b32_e32 v12, v11, v5
	v_lshlrev_b32_e32 v11, v11, v12
	v_cmp_ne_u32_e64 s[0:1], v11, v5
	v_add_u32_e32 v8, 0xfffffc10, v8
	v_lshl_or_b32 v11, v8, 12, v2
	v_cndmask_b32_e64 v5, 0, 1, s[0:1]
	v_or_b32_e32 v5, v12, v5
	v_cmp_gt_i32_e64 s[0:1], 1, v8
	v_fma_f16 v3, v75, v10, -v3
	v_cvt_f32_f16_e32 v3, v3
	v_cndmask_b32_e64 v5, v11, v5, s[0:1]
	v_and_b32_e32 v11, 7, v5
	v_cmp_lt_i32_e64 s[0:1], 5, v11
	v_cmp_eq_u32_e64 s[2:3], 3, v11
	v_lshrrev_b32_e32 v5, 2, v5
	s_or_b64 s[0:1], s[2:3], s[0:1]
	v_addc_co_u32_e64 v5, s[0:1], 0, v5, s[0:1]
	v_cmp_gt_i32_e64 s[0:1], 31, v8
	v_and_b32_sdwa v10, v9, s13 dst_sel:DWORD dst_unused:UNUSED_PAD src0_sel:WORD_1 src1_sel:DWORD
	s_nop 0
	v_cndmask_b32_e64 v5, v4, v5, s[0:1]
	v_cmp_ne_u32_e64 s[0:1], 0, v2
	s_nop 1
	v_cndmask_b32_e64 v2, 0, 1, s[0:1]
	v_lshl_or_b32 v2, v2, 9, v4
	v_cmp_eq_u32_e64 s[0:1], s12, v8
	s_nop 1
	v_cndmask_b32_e64 v5, v5, v2, s[0:1]
	v_cvt_f64_f32_e32 v[2:3], v3
	v_mul_f64 v[2:3], v[2:3], s[6:7]
	v_and_or_b32 v2, v3, s15, v2
	v_cmp_ne_u32_e64 s[0:1], 0, v2
	v_lshrrev_b32_e32 v8, 8, v3
	v_bfe_u32 v9, v3, 20, 11
	v_cndmask_b32_e64 v2, 0, 1, s[0:1]
	v_and_or_b32 v2, v8, s14, v2
	v_sub_u32_e32 v11, 0x3f1, v9
	v_or_b32_e32 v8, 0x1000, v2
	v_med3_i32 v11, v11, 0, 13
	v_lshrrev_b32_e32 v12, v11, v8
	v_lshlrev_b32_e32 v11, v11, v12
	v_cmp_ne_u32_e64 s[0:1], v11, v8
	v_add_u32_e32 v11, 0xfffffc10, v9
	v_lshl_or_b32 v9, v11, 12, v2
	v_cndmask_b32_e64 v8, 0, 1, s[0:1]
	v_or_b32_e32 v8, v12, v8
	v_cmp_gt_i32_e64 s[0:1], 1, v11
	v_lshrrev_b32_e32 v3, 16, v3
	s_nop 0
	v_cndmask_b32_e64 v8, v9, v8, s[0:1]
	v_and_b32_e32 v9, 7, v8
	v_cmp_lt_i32_e64 s[0:1], 5, v9
	v_cmp_eq_u32_e64 s[2:3], 3, v9
	v_lshrrev_b32_e32 v8, 2, v8
	s_or_b64 s[0:1], s[2:3], s[0:1]
	v_addc_co_u32_e64 v8, s[0:1], 0, v8, s[0:1]
	v_cmp_gt_i32_e64 s[0:1], 31, v11
	s_nop 1
	v_cndmask_b32_e64 v12, v4, v8, s[0:1]
	ds_read2_b32 v[8:9], v41 offset0:100 offset1:125
	v_cmp_ne_u32_e64 s[0:1], 0, v2
	s_nop 1
	v_cndmask_b32_e64 v2, 0, 1, s[0:1]
	v_lshl_or_b32 v2, v2, 9, v4
	v_cmp_eq_u32_e64 s[0:1], s12, v11
	s_nop 1
	v_cndmask_b32_e64 v2, v12, v2, s[0:1]
	v_and_or_b32 v2, v3, s13, v2
	v_bitop3_b32 v3, v10, s4, v5 bitop3:0xc8
	s_waitcnt lgkmcnt(0)
	v_lshrrev_b32_e32 v5, 16, v8
	v_mul_f16_sdwa v10, v74, v5 dst_sel:DWORD dst_unused:UNUSED_PAD src0_sel:WORD_1 src1_sel:DWORD
	v_fma_f16 v10, v74, v8, v10
	v_cvt_f32_f16_e32 v10, v10
	v_lshl_or_b32 v11, v2, 16, v3
	v_lshl_add_u64 v[2:3], v[6:7], 0, s[10:11]
	global_store_dword v[2:3], v11, off
	v_cvt_f64_f32_e32 v[6:7], v10
	v_mul_f64 v[6:7], v[6:7], s[6:7]
	v_and_or_b32 v6, v7, s15, v6
	v_cmp_ne_u32_e64 s[0:1], 0, v6
	v_lshrrev_b32_e32 v10, 8, v7
	v_bfe_u32 v11, v7, 20, 11
	v_cndmask_b32_e64 v6, 0, 1, s[0:1]
	v_and_or_b32 v6, v10, s14, v6
	v_sub_u32_e32 v12, 0x3f1, v11
	v_or_b32_e32 v10, 0x1000, v6
	v_med3_i32 v12, v12, 0, 13
	v_lshrrev_b32_e32 v13, v12, v10
	v_lshlrev_b32_e32 v12, v12, v13
	v_cmp_ne_u32_e64 s[0:1], v12, v10
	v_add_u32_e32 v11, 0xfffffc10, v11
	v_lshl_or_b32 v12, v11, 12, v6
	v_cndmask_b32_e64 v10, 0, 1, s[0:1]
	v_or_b32_e32 v10, v13, v10
	v_cmp_gt_i32_e64 s[0:1], 1, v11
	v_mul_f16_sdwa v8, v74, v8 dst_sel:DWORD dst_unused:UNUSED_PAD src0_sel:WORD_1 src1_sel:DWORD
	v_fma_f16 v5, v74, v5, -v8
	v_cndmask_b32_e64 v10, v12, v10, s[0:1]
	v_and_b32_e32 v12, 7, v10
	v_cmp_lt_i32_e64 s[0:1], 5, v12
	v_cmp_eq_u32_e64 s[2:3], 3, v12
	v_lshrrev_b32_e32 v10, 2, v10
	s_or_b64 s[0:1], s[2:3], s[0:1]
	v_addc_co_u32_e64 v10, s[0:1], 0, v10, s[0:1]
	v_cmp_gt_i32_e64 s[0:1], 31, v11
	v_cvt_f32_f16_e32 v5, v5
	v_lshl_add_u64 v[2:3], v[2:3], 0, s[10:11]
	v_cndmask_b32_e64 v10, v4, v10, s[0:1]
	v_cmp_ne_u32_e64 s[0:1], 0, v6
	s_nop 1
	v_cndmask_b32_e64 v6, 0, 1, s[0:1]
	v_lshl_or_b32 v6, v6, 9, v4
	v_cmp_eq_u32_e64 s[0:1], s12, v11
	s_nop 1
	v_cndmask_b32_e64 v8, v10, v6, s[0:1]
	v_and_b32_sdwa v10, v7, s13 dst_sel:DWORD dst_unused:UNUSED_PAD src0_sel:WORD_1 src1_sel:DWORD
	v_cvt_f64_f32_e32 v[6:7], v5
	v_mul_f64 v[6:7], v[6:7], s[6:7]
	v_and_or_b32 v5, v7, s15, v6
	v_cmp_ne_u32_e64 s[0:1], 0, v5
	v_lshrrev_b32_e32 v6, 8, v7
	v_bfe_u32 v11, v7, 20, 11
	v_cndmask_b32_e64 v5, 0, 1, s[0:1]
	v_and_or_b32 v5, v6, s14, v5
	v_sub_u32_e32 v12, 0x3f1, v11
	v_or_b32_e32 v6, 0x1000, v5
	v_med3_i32 v12, v12, 0, 13
	v_lshrrev_b32_e32 v13, v12, v6
	v_lshlrev_b32_e32 v12, v12, v13
	v_cmp_ne_u32_e64 s[0:1], v12, v6
	v_add_u32_e32 v11, 0xfffffc10, v11
	v_lshl_or_b32 v12, v11, 12, v5
	v_cndmask_b32_e64 v6, 0, 1, s[0:1]
	v_or_b32_e32 v6, v13, v6
	v_cmp_gt_i32_e64 s[0:1], 1, v11
	s_nop 1
	v_cndmask_b32_e64 v6, v12, v6, s[0:1]
	v_and_b32_e32 v12, 7, v6
	v_cmp_lt_i32_e64 s[0:1], 5, v12
	v_cmp_eq_u32_e64 s[2:3], 3, v12
	v_lshrrev_b32_e32 v6, 2, v6
	s_or_b64 s[0:1], s[2:3], s[0:1]
	v_addc_co_u32_e64 v6, s[0:1], 0, v6, s[0:1]
	v_cmp_gt_i32_e64 s[0:1], 31, v11
	s_nop 1
	v_cndmask_b32_e64 v6, v4, v6, s[0:1]
	v_cmp_ne_u32_e64 s[0:1], 0, v5
	s_nop 1
	v_cndmask_b32_e64 v5, 0, 1, s[0:1]
	v_lshl_or_b32 v5, v5, 9, v4
	v_cmp_eq_u32_e64 s[0:1], s12, v11
	s_nop 1
	v_cndmask_b32_e64 v5, v6, v5, s[0:1]
	v_lshrrev_b32_e32 v6, 16, v7
	v_and_or_b32 v5, v6, s13, v5
	v_bitop3_b32 v6, v10, s4, v8 bitop3:0xc8
	v_lshrrev_b32_e32 v8, 16, v9
	v_mul_f16_sdwa v7, v73, v8 dst_sel:DWORD dst_unused:UNUSED_PAD src0_sel:WORD_1 src1_sel:DWORD
	v_fma_f16 v7, v73, v9, v7
	v_cvt_f32_f16_e32 v7, v7
	v_lshl_or_b32 v5, v5, 16, v6
	global_store_dword v[2:3], v5, off
	v_mul_f16_sdwa v9, v73, v9 dst_sel:DWORD dst_unused:UNUSED_PAD src0_sel:WORD_1 src1_sel:DWORD
	v_cvt_f64_f32_e32 v[6:7], v7
	v_mul_f64 v[6:7], v[6:7], s[6:7]
	v_and_or_b32 v5, v7, s15, v6
	v_cmp_ne_u32_e64 s[0:1], 0, v5
	v_lshrrev_b32_e32 v6, 8, v7
	v_bfe_u32 v10, v7, 20, 11
	v_cndmask_b32_e64 v5, 0, 1, s[0:1]
	v_and_or_b32 v5, v6, s14, v5
	v_sub_u32_e32 v11, 0x3f1, v10
	v_or_b32_e32 v6, 0x1000, v5
	v_med3_i32 v11, v11, 0, 13
	v_lshrrev_b32_e32 v12, v11, v6
	v_lshlrev_b32_e32 v11, v11, v12
	v_cmp_ne_u32_e64 s[0:1], v11, v6
	v_add_u32_e32 v10, 0xfffffc10, v10
	v_lshl_or_b32 v11, v10, 12, v5
	v_cndmask_b32_e64 v6, 0, 1, s[0:1]
	v_or_b32_e32 v6, v12, v6
	v_cmp_gt_i32_e64 s[0:1], 1, v10
	v_fma_f16 v8, v73, v8, -v9
	v_cvt_f32_f16_e32 v8, v8
	v_cndmask_b32_e64 v6, v11, v6, s[0:1]
	v_and_b32_e32 v11, 7, v6
	v_cmp_lt_i32_e64 s[0:1], 5, v11
	v_cmp_eq_u32_e64 s[2:3], 3, v11
	v_lshrrev_b32_e32 v6, 2, v6
	s_or_b64 s[0:1], s[2:3], s[0:1]
	v_addc_co_u32_e64 v6, s[0:1], 0, v6, s[0:1]
	v_cmp_gt_i32_e64 s[0:1], 31, v10
	v_lshl_add_u64 v[2:3], v[2:3], 0, s[10:11]
	s_nop 0
	v_cndmask_b32_e64 v6, v4, v6, s[0:1]
	v_cmp_ne_u32_e64 s[0:1], 0, v5
	s_nop 1
	v_cndmask_b32_e64 v5, 0, 1, s[0:1]
	v_lshl_or_b32 v5, v5, 9, v4
	v_cmp_eq_u32_e64 s[0:1], s12, v10
	v_and_b32_sdwa v10, v7, s13 dst_sel:DWORD dst_unused:UNUSED_PAD src0_sel:WORD_1 src1_sel:DWORD
	s_nop 0
	v_cndmask_b32_e64 v5, v6, v5, s[0:1]
	v_cvt_f64_f32_e32 v[6:7], v8
	v_mul_f64 v[6:7], v[6:7], s[6:7]
	v_and_or_b32 v6, v7, s15, v6
	v_cmp_ne_u32_e64 s[0:1], 0, v6
	v_lshrrev_b32_e32 v8, 8, v7
	v_bfe_u32 v9, v7, 20, 11
	v_cndmask_b32_e64 v6, 0, 1, s[0:1]
	v_and_or_b32 v6, v8, s14, v6
	v_sub_u32_e32 v11, 0x3f1, v9
	v_or_b32_e32 v8, 0x1000, v6
	v_med3_i32 v11, v11, 0, 13
	v_lshrrev_b32_e32 v12, v11, v8
	v_lshlrev_b32_e32 v11, v11, v12
	v_cmp_ne_u32_e64 s[0:1], v11, v8
	v_add_u32_e32 v11, 0xfffffc10, v9
	v_lshl_or_b32 v9, v11, 12, v6
	v_cndmask_b32_e64 v8, 0, 1, s[0:1]
	v_or_b32_e32 v8, v12, v8
	v_cmp_gt_i32_e64 s[0:1], 1, v11
	v_lshrrev_b32_e32 v7, 16, v7
	v_bitop3_b32 v5, v10, s4, v5 bitop3:0xc8
	v_cndmask_b32_e64 v8, v9, v8, s[0:1]
	v_and_b32_e32 v9, 7, v8
	v_cmp_lt_i32_e64 s[0:1], 5, v9
	v_cmp_eq_u32_e64 s[2:3], 3, v9
	v_lshrrev_b32_e32 v8, 2, v8
	s_or_b64 s[0:1], s[2:3], s[0:1]
	v_addc_co_u32_e64 v8, s[0:1], 0, v8, s[0:1]
	v_cmp_gt_i32_e64 s[0:1], 31, v11
	s_nop 1
	v_cndmask_b32_e64 v12, v4, v8, s[0:1]
	ds_read2_b32 v[8:9], v41 offset0:150 offset1:175
	v_cmp_ne_u32_e64 s[0:1], 0, v6
	s_waitcnt lgkmcnt(0)
	v_lshrrev_b32_e32 v10, 16, v8
	v_cndmask_b32_e64 v6, 0, 1, s[0:1]
	v_lshl_or_b32 v6, v6, 9, v4
	v_cmp_eq_u32_e64 s[0:1], s12, v11
	s_nop 1
	v_cndmask_b32_e64 v6, v12, v6, s[0:1]
	v_and_or_b32 v6, v7, s13, v6
	v_mul_f16_sdwa v7, v72, v10 dst_sel:DWORD dst_unused:UNUSED_PAD src0_sel:WORD_1 src1_sel:DWORD
	v_fma_f16 v7, v72, v8, v7
	v_cvt_f32_f16_e32 v7, v7
	v_lshl_or_b32 v5, v6, 16, v5
	global_store_dword v[2:3], v5, off
	v_mul_f16_sdwa v8, v72, v8 dst_sel:DWORD dst_unused:UNUSED_PAD src0_sel:WORD_1 src1_sel:DWORD
	v_cvt_f64_f32_e32 v[6:7], v7
	v_mul_f64 v[6:7], v[6:7], s[6:7]
	v_and_or_b32 v5, v7, s15, v6
	v_cmp_ne_u32_e64 s[0:1], 0, v5
	v_lshrrev_b32_e32 v6, 8, v7
	v_bfe_u32 v11, v7, 20, 11
	v_cndmask_b32_e64 v5, 0, 1, s[0:1]
	v_and_or_b32 v5, v6, s14, v5
	v_sub_u32_e32 v12, 0x3f1, v11
	v_or_b32_e32 v6, 0x1000, v5
	v_med3_i32 v12, v12, 0, 13
	v_lshrrev_b32_e32 v13, v12, v6
	v_lshlrev_b32_e32 v12, v12, v13
	v_cmp_ne_u32_e64 s[0:1], v12, v6
	v_add_u32_e32 v11, 0xfffffc10, v11
	v_lshl_or_b32 v12, v11, 12, v5
	v_cndmask_b32_e64 v6, 0, 1, s[0:1]
	v_or_b32_e32 v6, v13, v6
	v_cmp_gt_i32_e64 s[0:1], 1, v11
	v_fma_f16 v8, v72, v10, -v8
	v_cvt_f32_f16_e32 v8, v8
	v_cndmask_b32_e64 v6, v12, v6, s[0:1]
	v_and_b32_e32 v12, 7, v6
	v_cmp_lt_i32_e64 s[0:1], 5, v12
	v_cmp_eq_u32_e64 s[2:3], 3, v12
	v_lshrrev_b32_e32 v6, 2, v6
	s_or_b64 s[0:1], s[2:3], s[0:1]
	v_addc_co_u32_e64 v6, s[0:1], 0, v6, s[0:1]
	v_cmp_gt_i32_e64 s[0:1], 31, v11
	v_and_b32_sdwa v10, v7, s13 dst_sel:DWORD dst_unused:UNUSED_PAD src0_sel:WORD_1 src1_sel:DWORD
	v_lshl_add_u64 v[2:3], v[2:3], 0, s[10:11]
	v_cndmask_b32_e64 v6, v4, v6, s[0:1]
	v_cmp_ne_u32_e64 s[0:1], 0, v5
	s_nop 1
	v_cndmask_b32_e64 v5, 0, 1, s[0:1]
	v_lshl_or_b32 v5, v5, 9, v4
	v_cmp_eq_u32_e64 s[0:1], s12, v11
	s_nop 1
	v_cndmask_b32_e64 v5, v6, v5, s[0:1]
	v_cvt_f64_f32_e32 v[6:7], v8
	v_mul_f64 v[6:7], v[6:7], s[6:7]
	v_and_or_b32 v6, v7, s15, v6
	v_cmp_ne_u32_e64 s[0:1], 0, v6
	v_lshrrev_b32_e32 v8, 8, v7
	v_bfe_u32 v11, v7, 20, 11
	v_cndmask_b32_e64 v6, 0, 1, s[0:1]
	v_and_or_b32 v6, v8, s14, v6
	v_sub_u32_e32 v12, 0x3f1, v11
	v_or_b32_e32 v8, 0x1000, v6
	v_med3_i32 v12, v12, 0, 13
	v_lshrrev_b32_e32 v13, v12, v8
	v_lshlrev_b32_e32 v12, v12, v13
	v_cmp_ne_u32_e64 s[0:1], v12, v8
	v_add_u32_e32 v11, 0xfffffc10, v11
	v_lshl_or_b32 v12, v11, 12, v6
	v_cndmask_b32_e64 v8, 0, 1, s[0:1]
	v_or_b32_e32 v8, v13, v8
	v_cmp_gt_i32_e64 s[0:1], 1, v11
	v_lshrrev_b32_e32 v7, 16, v7
	v_bitop3_b32 v5, v10, s4, v5 bitop3:0xc8
	v_cndmask_b32_e64 v8, v12, v8, s[0:1]
	v_and_b32_e32 v12, 7, v8
	v_cmp_lt_i32_e64 s[0:1], 5, v12
	v_cmp_eq_u32_e64 s[2:3], 3, v12
	v_lshrrev_b32_e32 v8, 2, v8
	s_or_b64 s[0:1], s[2:3], s[0:1]
	v_addc_co_u32_e64 v8, s[0:1], 0, v8, s[0:1]
	v_cmp_gt_i32_e64 s[0:1], 31, v11
	s_nop 1
	v_cndmask_b32_e64 v8, v4, v8, s[0:1]
	v_cmp_ne_u32_e64 s[0:1], 0, v6
	s_nop 1
	v_cndmask_b32_e64 v6, 0, 1, s[0:1]
	v_lshl_or_b32 v6, v6, 9, v4
	v_cmp_eq_u32_e64 s[0:1], s12, v11
	s_nop 1
	v_cndmask_b32_e64 v6, v8, v6, s[0:1]
	v_lshrrev_b32_e32 v8, 16, v9
	v_and_or_b32 v6, v7, s13, v6
	v_mul_f16_sdwa v7, v71, v8 dst_sel:DWORD dst_unused:UNUSED_PAD src0_sel:WORD_1 src1_sel:DWORD
	v_fma_f16 v7, v71, v9, v7
	v_cvt_f32_f16_e32 v7, v7
	v_lshl_or_b32 v5, v6, 16, v5
	global_store_dword v[2:3], v5, off
	v_mul_f16_sdwa v9, v71, v9 dst_sel:DWORD dst_unused:UNUSED_PAD src0_sel:WORD_1 src1_sel:DWORD
	v_cvt_f64_f32_e32 v[6:7], v7
	v_mul_f64 v[6:7], v[6:7], s[6:7]
	v_and_or_b32 v5, v7, s15, v6
	v_cmp_ne_u32_e64 s[0:1], 0, v5
	v_lshrrev_b32_e32 v6, 8, v7
	v_bfe_u32 v10, v7, 20, 11
	v_cndmask_b32_e64 v5, 0, 1, s[0:1]
	v_and_or_b32 v5, v6, s14, v5
	v_sub_u32_e32 v11, 0x3f1, v10
	v_or_b32_e32 v6, 0x1000, v5
	v_med3_i32 v11, v11, 0, 13
	v_lshrrev_b32_e32 v12, v11, v6
	v_lshlrev_b32_e32 v11, v11, v12
	v_cmp_ne_u32_e64 s[0:1], v11, v6
	v_add_u32_e32 v10, 0xfffffc10, v10
	v_lshl_or_b32 v11, v10, 12, v5
	v_cndmask_b32_e64 v6, 0, 1, s[0:1]
	v_or_b32_e32 v6, v12, v6
	v_cmp_gt_i32_e64 s[0:1], 1, v10
	v_fma_f16 v8, v71, v8, -v9
	v_cvt_f32_f16_e32 v8, v8
	v_cndmask_b32_e64 v6, v11, v6, s[0:1]
	v_and_b32_e32 v11, 7, v6
	v_cmp_lt_i32_e64 s[0:1], 5, v11
	v_cmp_eq_u32_e64 s[2:3], 3, v11
	v_lshrrev_b32_e32 v6, 2, v6
	s_or_b64 s[0:1], s[2:3], s[0:1]
	v_addc_co_u32_e64 v6, s[0:1], 0, v6, s[0:1]
	v_cmp_gt_i32_e64 s[0:1], 31, v10
	v_lshl_add_u64 v[2:3], v[2:3], 0, s[10:11]
	s_nop 0
	v_cndmask_b32_e64 v6, v4, v6, s[0:1]
	v_cmp_ne_u32_e64 s[0:1], 0, v5
	s_nop 1
	v_cndmask_b32_e64 v5, 0, 1, s[0:1]
	v_lshl_or_b32 v5, v5, 9, v4
	v_cmp_eq_u32_e64 s[0:1], s12, v10
	v_and_b32_sdwa v10, v7, s13 dst_sel:DWORD dst_unused:UNUSED_PAD src0_sel:WORD_1 src1_sel:DWORD
	s_nop 0
	v_cndmask_b32_e64 v5, v6, v5, s[0:1]
	v_cvt_f64_f32_e32 v[6:7], v8
	v_mul_f64 v[6:7], v[6:7], s[6:7]
	v_and_or_b32 v6, v7, s15, v6
	v_cmp_ne_u32_e64 s[0:1], 0, v6
	v_lshrrev_b32_e32 v8, 8, v7
	v_bfe_u32 v9, v7, 20, 11
	v_cndmask_b32_e64 v6, 0, 1, s[0:1]
	v_and_or_b32 v6, v8, s14, v6
	v_sub_u32_e32 v11, 0x3f1, v9
	v_or_b32_e32 v8, 0x1000, v6
	v_med3_i32 v11, v11, 0, 13
	v_lshrrev_b32_e32 v12, v11, v8
	v_lshlrev_b32_e32 v11, v11, v12
	v_cmp_ne_u32_e64 s[0:1], v11, v8
	v_add_u32_e32 v11, 0xfffffc10, v9
	v_lshl_or_b32 v9, v11, 12, v6
	v_cndmask_b32_e64 v8, 0, 1, s[0:1]
	v_or_b32_e32 v8, v12, v8
	v_cmp_gt_i32_e64 s[0:1], 1, v11
	v_lshrrev_b32_e32 v7, 16, v7
	v_bitop3_b32 v5, v10, s4, v5 bitop3:0xc8
	v_cndmask_b32_e64 v8, v9, v8, s[0:1]
	v_and_b32_e32 v9, 7, v8
	v_cmp_lt_i32_e64 s[0:1], 5, v9
	v_cmp_eq_u32_e64 s[2:3], 3, v9
	v_lshrrev_b32_e32 v8, 2, v8
	s_or_b64 s[0:1], s[2:3], s[0:1]
	v_addc_co_u32_e64 v8, s[0:1], 0, v8, s[0:1]
	v_cmp_gt_i32_e64 s[0:1], 31, v11
	s_nop 1
	v_cndmask_b32_e64 v12, v4, v8, s[0:1]
	ds_read2_b32 v[8:9], v41 offset0:200 offset1:225
	v_cmp_ne_u32_e64 s[0:1], 0, v6
	s_waitcnt lgkmcnt(0)
	v_lshrrev_b32_e32 v10, 16, v8
	v_cndmask_b32_e64 v6, 0, 1, s[0:1]
	v_lshl_or_b32 v6, v6, 9, v4
	v_cmp_eq_u32_e64 s[0:1], s12, v11
	s_nop 1
	v_cndmask_b32_e64 v6, v12, v6, s[0:1]
	v_and_or_b32 v6, v7, s13, v6
	v_mul_f16_sdwa v7, v70, v10 dst_sel:DWORD dst_unused:UNUSED_PAD src0_sel:WORD_1 src1_sel:DWORD
	v_fma_f16 v7, v70, v8, v7
	v_cvt_f32_f16_e32 v7, v7
	v_lshl_or_b32 v5, v6, 16, v5
	global_store_dword v[2:3], v5, off
	v_mul_f16_sdwa v8, v70, v8 dst_sel:DWORD dst_unused:UNUSED_PAD src0_sel:WORD_1 src1_sel:DWORD
	v_cvt_f64_f32_e32 v[6:7], v7
	v_mul_f64 v[6:7], v[6:7], s[6:7]
	v_and_or_b32 v5, v7, s15, v6
	v_cmp_ne_u32_e64 s[0:1], 0, v5
	v_lshrrev_b32_e32 v6, 8, v7
	v_bfe_u32 v11, v7, 20, 11
	v_cndmask_b32_e64 v5, 0, 1, s[0:1]
	v_and_or_b32 v5, v6, s14, v5
	v_sub_u32_e32 v12, 0x3f1, v11
	v_or_b32_e32 v6, 0x1000, v5
	v_med3_i32 v12, v12, 0, 13
	v_lshrrev_b32_e32 v13, v12, v6
	v_lshlrev_b32_e32 v12, v12, v13
	v_cmp_ne_u32_e64 s[0:1], v12, v6
	v_add_u32_e32 v11, 0xfffffc10, v11
	v_lshl_or_b32 v12, v11, 12, v5
	v_cndmask_b32_e64 v6, 0, 1, s[0:1]
	v_or_b32_e32 v6, v13, v6
	v_cmp_gt_i32_e64 s[0:1], 1, v11
	v_fma_f16 v8, v70, v10, -v8
	v_cvt_f32_f16_e32 v8, v8
	v_cndmask_b32_e64 v6, v12, v6, s[0:1]
	v_and_b32_e32 v12, 7, v6
	v_cmp_lt_i32_e64 s[0:1], 5, v12
	v_cmp_eq_u32_e64 s[2:3], 3, v12
	v_lshrrev_b32_e32 v6, 2, v6
	s_or_b64 s[0:1], s[2:3], s[0:1]
	v_addc_co_u32_e64 v6, s[0:1], 0, v6, s[0:1]
	v_cmp_gt_i32_e64 s[0:1], 31, v11
	v_and_b32_sdwa v10, v7, s13 dst_sel:DWORD dst_unused:UNUSED_PAD src0_sel:WORD_1 src1_sel:DWORD
	v_lshl_add_u64 v[2:3], v[2:3], 0, s[10:11]
	v_cndmask_b32_e64 v6, v4, v6, s[0:1]
	v_cmp_ne_u32_e64 s[0:1], 0, v5
	s_nop 1
	v_cndmask_b32_e64 v5, 0, 1, s[0:1]
	v_lshl_or_b32 v5, v5, 9, v4
	v_cmp_eq_u32_e64 s[0:1], s12, v11
	s_nop 1
	v_cndmask_b32_e64 v5, v6, v5, s[0:1]
	v_cvt_f64_f32_e32 v[6:7], v8
	v_mul_f64 v[6:7], v[6:7], s[6:7]
	v_and_or_b32 v6, v7, s15, v6
	v_cmp_ne_u32_e64 s[0:1], 0, v6
	v_lshrrev_b32_e32 v8, 8, v7
	v_bfe_u32 v11, v7, 20, 11
	v_cndmask_b32_e64 v6, 0, 1, s[0:1]
	v_and_or_b32 v6, v8, s14, v6
	v_sub_u32_e32 v12, 0x3f1, v11
	v_or_b32_e32 v8, 0x1000, v6
	v_med3_i32 v12, v12, 0, 13
	v_lshrrev_b32_e32 v13, v12, v8
	v_lshlrev_b32_e32 v12, v12, v13
	v_cmp_ne_u32_e64 s[0:1], v12, v8
	v_add_u32_e32 v11, 0xfffffc10, v11
	v_lshl_or_b32 v12, v11, 12, v6
	v_cndmask_b32_e64 v8, 0, 1, s[0:1]
	v_or_b32_e32 v8, v13, v8
	v_cmp_gt_i32_e64 s[0:1], 1, v11
	v_lshrrev_b32_e32 v7, 16, v7
	v_bitop3_b32 v5, v10, s4, v5 bitop3:0xc8
	v_cndmask_b32_e64 v8, v12, v8, s[0:1]
	v_and_b32_e32 v12, 7, v8
	v_cmp_lt_i32_e64 s[0:1], 5, v12
	v_cmp_eq_u32_e64 s[2:3], 3, v12
	v_lshrrev_b32_e32 v8, 2, v8
	s_or_b64 s[0:1], s[2:3], s[0:1]
	v_addc_co_u32_e64 v8, s[0:1], 0, v8, s[0:1]
	v_cmp_gt_i32_e64 s[0:1], 31, v11
	s_nop 1
	v_cndmask_b32_e64 v8, v4, v8, s[0:1]
	v_cmp_ne_u32_e64 s[0:1], 0, v6
	s_nop 1
	v_cndmask_b32_e64 v6, 0, 1, s[0:1]
	v_lshl_or_b32 v6, v6, 9, v4
	v_cmp_eq_u32_e64 s[0:1], s12, v11
	s_nop 1
	v_cndmask_b32_e64 v6, v8, v6, s[0:1]
	v_lshrrev_b32_e32 v8, 16, v9
	v_and_or_b32 v6, v7, s13, v6
	v_mul_f16_sdwa v7, v69, v8 dst_sel:DWORD dst_unused:UNUSED_PAD src0_sel:WORD_1 src1_sel:DWORD
	v_fma_f16 v7, v69, v9, v7
	v_cvt_f32_f16_e32 v7, v7
	v_lshl_or_b32 v5, v6, 16, v5
	global_store_dword v[2:3], v5, off
	v_mul_f16_sdwa v9, v69, v9 dst_sel:DWORD dst_unused:UNUSED_PAD src0_sel:WORD_1 src1_sel:DWORD
	v_cvt_f64_f32_e32 v[6:7], v7
	v_mul_f64 v[6:7], v[6:7], s[6:7]
	v_and_or_b32 v5, v7, s15, v6
	v_cmp_ne_u32_e64 s[0:1], 0, v5
	v_lshrrev_b32_e32 v6, 8, v7
	v_bfe_u32 v10, v7, 20, 11
	v_cndmask_b32_e64 v5, 0, 1, s[0:1]
	v_and_or_b32 v5, v6, s14, v5
	v_sub_u32_e32 v11, 0x3f1, v10
	v_or_b32_e32 v6, 0x1000, v5
	v_med3_i32 v11, v11, 0, 13
	v_lshrrev_b32_e32 v12, v11, v6
	v_lshlrev_b32_e32 v11, v11, v12
	v_cmp_ne_u32_e64 s[0:1], v11, v6
	v_add_u32_e32 v10, 0xfffffc10, v10
	v_lshl_or_b32 v11, v10, 12, v5
	v_cndmask_b32_e64 v6, 0, 1, s[0:1]
	v_or_b32_e32 v6, v12, v6
	v_cmp_gt_i32_e64 s[0:1], 1, v10
	v_fma_f16 v8, v69, v8, -v9
	v_cvt_f32_f16_e32 v8, v8
	v_cndmask_b32_e64 v6, v11, v6, s[0:1]
	v_and_b32_e32 v11, 7, v6
	v_cmp_lt_i32_e64 s[0:1], 5, v11
	v_cmp_eq_u32_e64 s[2:3], 3, v11
	v_lshrrev_b32_e32 v6, 2, v6
	s_or_b64 s[0:1], s[2:3], s[0:1]
	v_addc_co_u32_e64 v6, s[0:1], 0, v6, s[0:1]
	v_cmp_gt_i32_e64 s[0:1], 31, v10
	v_and_b32_sdwa v11, v7, s13 dst_sel:DWORD dst_unused:UNUSED_PAD src0_sel:WORD_1 src1_sel:DWORD
	v_lshl_add_u64 v[2:3], v[2:3], 0, s[10:11]
	v_cndmask_b32_e64 v6, v4, v6, s[0:1]
	v_cmp_ne_u32_e64 s[0:1], 0, v5
	s_nop 1
	v_cndmask_b32_e64 v5, 0, 1, s[0:1]
	v_lshl_or_b32 v5, v5, 9, v4
	v_cmp_eq_u32_e64 s[0:1], s12, v10
	s_nop 1
	v_cndmask_b32_e64 v10, v6, v5, s[0:1]
	v_cvt_f64_f32_e32 v[6:7], v8
	v_mul_f64 v[6:7], v[6:7], s[6:7]
	v_and_or_b32 v5, v7, s15, v6
	v_cmp_ne_u32_e64 s[0:1], 0, v5
	v_lshrrev_b32_e32 v6, 8, v7
	v_bfe_u32 v8, v7, 20, 11
	v_cndmask_b32_e64 v5, 0, 1, s[0:1]
	v_and_or_b32 v5, v6, s14, v5
	v_sub_u32_e32 v9, 0x3f1, v8
	v_or_b32_e32 v6, 0x1000, v5
	v_med3_i32 v9, v9, 0, 13
	v_lshrrev_b32_e32 v12, v9, v6
	v_lshlrev_b32_e32 v9, v9, v12
	v_cmp_ne_u32_e64 s[0:1], v9, v6
	v_lshrrev_b32_e32 v7, 16, v7
	s_nop 0
	v_cndmask_b32_e64 v6, 0, 1, s[0:1]
	v_or_b32_e32 v6, v12, v6
	v_add_u32_e32 v12, 0xfffffc10, v8
	v_lshl_or_b32 v8, v12, 12, v5
	v_cmp_gt_i32_e64 s[0:1], 1, v12
	s_nop 1
	v_cndmask_b32_e64 v6, v8, v6, s[0:1]
	v_and_b32_e32 v8, 7, v6
	v_cmp_lt_i32_e64 s[0:1], 5, v8
	v_cmp_eq_u32_e64 s[2:3], 3, v8
	v_lshrrev_b32_e32 v6, 2, v6
	s_or_b64 s[0:1], s[2:3], s[0:1]
	v_addc_co_u32_e64 v6, s[0:1], 0, v6, s[0:1]
	v_cmp_gt_i32_e64 s[0:1], 31, v12
	s_nop 1
	v_cndmask_b32_e64 v6, v4, v6, s[0:1]
	v_cmp_ne_u32_e64 s[0:1], 0, v5
	s_nop 1
	v_cndmask_b32_e64 v5, 0, 1, s[0:1]
	v_lshl_or_b32 v13, v5, 9, v4
	v_add_u32_e32 v5, 0x200, v41
	ds_read2_b32 v[8:9], v5 offset0:122 offset1:147
	v_cmp_eq_u32_e64 s[0:1], s12, v12
	s_nop 1
	v_cndmask_b32_e64 v6, v6, v13, s[0:1]
	v_and_or_b32 v6, v7, s13, v6
	v_bitop3_b32 v7, v11, s4, v10 bitop3:0xc8
	s_waitcnt lgkmcnt(0)
	v_lshrrev_b32_e32 v10, 16, v8
	v_mul_f16_sdwa v11, v68, v10 dst_sel:DWORD dst_unused:UNUSED_PAD src0_sel:WORD_1 src1_sel:DWORD
	v_fma_f16 v11, v68, v8, v11
	v_cvt_f32_f16_e32 v11, v11
	v_lshl_or_b32 v6, v6, 16, v7
	global_store_dword v[2:3], v6, off
	v_mul_f16_sdwa v8, v68, v8 dst_sel:DWORD dst_unused:UNUSED_PAD src0_sel:WORD_1 src1_sel:DWORD
	v_cvt_f64_f32_e32 v[6:7], v11
	v_mul_f64 v[6:7], v[6:7], s[6:7]
	v_and_or_b32 v6, v7, s15, v6
	v_cmp_ne_u32_e64 s[0:1], 0, v6
	v_lshrrev_b32_e32 v11, 8, v7
	v_bfe_u32 v12, v7, 20, 11
	v_cndmask_b32_e64 v6, 0, 1, s[0:1]
	v_and_or_b32 v6, v11, s14, v6
	v_sub_u32_e32 v13, 0x3f1, v12
	v_or_b32_e32 v11, 0x1000, v6
	v_med3_i32 v13, v13, 0, 13
	v_lshrrev_b32_e32 v14, v13, v11
	v_lshlrev_b32_e32 v13, v13, v14
	v_cmp_ne_u32_e64 s[0:1], v13, v11
	v_add_u32_e32 v12, 0xfffffc10, v12
	v_lshl_or_b32 v13, v12, 12, v6
	v_cndmask_b32_e64 v11, 0, 1, s[0:1]
	v_or_b32_e32 v11, v14, v11
	v_cmp_gt_i32_e64 s[0:1], 1, v12
	v_fma_f16 v8, v68, v10, -v8
	v_cvt_f32_f16_e32 v8, v8
	v_cndmask_b32_e64 v11, v13, v11, s[0:1]
	v_and_b32_e32 v13, 7, v11
	v_cmp_lt_i32_e64 s[0:1], 5, v13
	v_cmp_eq_u32_e64 s[2:3], 3, v13
	v_lshrrev_b32_e32 v11, 2, v11
	s_or_b64 s[0:1], s[2:3], s[0:1]
	v_addc_co_u32_e64 v11, s[0:1], 0, v11, s[0:1]
	v_cmp_gt_i32_e64 s[0:1], 31, v12
	v_lshl_add_u64 v[2:3], v[2:3], 0, s[10:11]
	s_nop 0
	v_cndmask_b32_e64 v11, v4, v11, s[0:1]
	v_cmp_ne_u32_e64 s[0:1], 0, v6
	s_nop 1
	v_cndmask_b32_e64 v6, 0, 1, s[0:1]
	v_lshl_or_b32 v6, v6, 9, v4
	v_cmp_eq_u32_e64 s[0:1], s12, v12
	s_nop 1
	v_cndmask_b32_e64 v10, v11, v6, s[0:1]
	v_and_b32_sdwa v11, v7, s13 dst_sel:DWORD dst_unused:UNUSED_PAD src0_sel:WORD_1 src1_sel:DWORD
	v_cvt_f64_f32_e32 v[6:7], v8
	v_mul_f64 v[6:7], v[6:7], s[6:7]
	v_and_or_b32 v6, v7, s15, v6
	v_cmp_ne_u32_e64 s[0:1], 0, v6
	v_lshrrev_b32_e32 v8, 8, v7
	v_bfe_u32 v12, v7, 20, 11
	v_cndmask_b32_e64 v6, 0, 1, s[0:1]
	v_and_or_b32 v6, v8, s14, v6
	v_sub_u32_e32 v13, 0x3f1, v12
	v_or_b32_e32 v8, 0x1000, v6
	v_med3_i32 v13, v13, 0, 13
	v_lshrrev_b32_e32 v14, v13, v8
	v_lshlrev_b32_e32 v13, v13, v14
	v_cmp_ne_u32_e64 s[0:1], v13, v8
	v_add_u32_e32 v12, 0xfffffc10, v12
	v_lshl_or_b32 v13, v12, 12, v6
	v_cndmask_b32_e64 v8, 0, 1, s[0:1]
	v_or_b32_e32 v8, v14, v8
	v_cmp_gt_i32_e64 s[0:1], 1, v12
	v_lshrrev_b32_e32 v7, 16, v7
	s_nop 0
	v_cndmask_b32_e64 v8, v13, v8, s[0:1]
	v_and_b32_e32 v13, 7, v8
	v_cmp_lt_i32_e64 s[0:1], 5, v13
	v_cmp_eq_u32_e64 s[2:3], 3, v13
	v_lshrrev_b32_e32 v8, 2, v8
	s_or_b64 s[0:1], s[2:3], s[0:1]
	v_addc_co_u32_e64 v8, s[0:1], 0, v8, s[0:1]
	v_cmp_gt_i32_e64 s[0:1], 31, v12
	s_nop 1
	v_cndmask_b32_e64 v8, v4, v8, s[0:1]
	v_cmp_ne_u32_e64 s[0:1], 0, v6
	s_nop 1
	v_cndmask_b32_e64 v6, 0, 1, s[0:1]
	v_lshl_or_b32 v6, v6, 9, v4
	v_cmp_eq_u32_e64 s[0:1], s12, v12
	s_nop 1
	v_cndmask_b32_e64 v6, v8, v6, s[0:1]
	v_lshrrev_b32_e32 v8, 16, v9
	v_and_or_b32 v6, v7, s13, v6
	v_bitop3_b32 v7, v11, s4, v10 bitop3:0xc8
	v_mul_f16_sdwa v10, v67, v8 dst_sel:DWORD dst_unused:UNUSED_PAD src0_sel:WORD_1 src1_sel:DWORD
	v_fma_f16 v10, v67, v9, v10
	v_cvt_f32_f16_e32 v10, v10
	v_lshl_or_b32 v6, v6, 16, v7
	global_store_dword v[2:3], v6, off
	v_mul_f16_sdwa v9, v67, v9 dst_sel:DWORD dst_unused:UNUSED_PAD src0_sel:WORD_1 src1_sel:DWORD
	v_cvt_f64_f32_e32 v[6:7], v10
	v_mul_f64 v[6:7], v[6:7], s[6:7]
	v_and_or_b32 v6, v7, s15, v6
	v_cmp_ne_u32_e64 s[0:1], 0, v6
	v_lshrrev_b32_e32 v10, 8, v7
	v_bfe_u32 v11, v7, 20, 11
	v_cndmask_b32_e64 v6, 0, 1, s[0:1]
	v_and_or_b32 v6, v10, s14, v6
	v_sub_u32_e32 v12, 0x3f1, v11
	v_or_b32_e32 v10, 0x1000, v6
	v_med3_i32 v12, v12, 0, 13
	v_lshrrev_b32_e32 v13, v12, v10
	v_lshlrev_b32_e32 v12, v12, v13
	v_cmp_ne_u32_e64 s[0:1], v12, v10
	v_add_u32_e32 v11, 0xfffffc10, v11
	v_lshl_or_b32 v12, v11, 12, v6
	v_cndmask_b32_e64 v10, 0, 1, s[0:1]
	v_or_b32_e32 v10, v13, v10
	v_cmp_gt_i32_e64 s[0:1], 1, v11
	v_fma_f16 v8, v67, v8, -v9
	v_cvt_f32_f16_e32 v8, v8
	v_cndmask_b32_e64 v10, v12, v10, s[0:1]
	v_and_b32_e32 v12, 7, v10
	v_cmp_lt_i32_e64 s[0:1], 5, v12
	v_cmp_eq_u32_e64 s[2:3], 3, v12
	v_lshrrev_b32_e32 v10, 2, v10
	s_or_b64 s[0:1], s[2:3], s[0:1]
	v_addc_co_u32_e64 v10, s[0:1], 0, v10, s[0:1]
	v_cmp_gt_i32_e64 s[0:1], 31, v11
	v_lshl_add_u64 v[2:3], v[2:3], 0, s[10:11]
	s_nop 0
	v_cndmask_b32_e64 v10, v4, v10, s[0:1]
	v_cmp_ne_u32_e64 s[0:1], 0, v6
	s_nop 1
	v_cndmask_b32_e64 v6, 0, 1, s[0:1]
	v_lshl_or_b32 v6, v6, 9, v4
	v_cmp_eq_u32_e64 s[0:1], s12, v11
	s_nop 1
	v_cndmask_b32_e64 v9, v10, v6, s[0:1]
	v_and_b32_sdwa v10, v7, s13 dst_sel:DWORD dst_unused:UNUSED_PAD src0_sel:WORD_1 src1_sel:DWORD
	v_cvt_f64_f32_e32 v[6:7], v8
	v_mul_f64 v[6:7], v[6:7], s[6:7]
	v_and_or_b32 v6, v7, s15, v6
	v_cmp_ne_u32_e64 s[0:1], 0, v6
	v_lshrrev_b32_e32 v8, 8, v7
	v_bfe_u32 v11, v7, 20, 11
	v_cndmask_b32_e64 v6, 0, 1, s[0:1]
	v_and_or_b32 v6, v8, s14, v6
	v_sub_u32_e32 v12, 0x3f1, v11
	v_or_b32_e32 v8, 0x1000, v6
	v_med3_i32 v12, v12, 0, 13
	v_lshrrev_b32_e32 v13, v12, v8
	v_lshlrev_b32_e32 v12, v12, v13
	v_cmp_ne_u32_e64 s[0:1], v12, v8
	v_add_u32_e32 v11, 0xfffffc10, v11
	v_lshl_or_b32 v12, v11, 12, v6
	v_cndmask_b32_e64 v8, 0, 1, s[0:1]
	v_or_b32_e32 v8, v13, v8
	v_cmp_gt_i32_e64 s[0:1], 1, v11
	v_lshrrev_b32_e32 v7, 16, v7
	s_nop 0
	v_cndmask_b32_e64 v8, v12, v8, s[0:1]
	v_and_b32_e32 v12, 7, v8
	v_cmp_lt_i32_e64 s[0:1], 5, v12
	v_cmp_eq_u32_e64 s[2:3], 3, v12
	v_lshrrev_b32_e32 v8, 2, v8
	s_or_b64 s[0:1], s[2:3], s[0:1]
	v_addc_co_u32_e64 v8, s[0:1], 0, v8, s[0:1]
	ds_read_b32 v12, v41 offset:1200
	v_cmp_gt_i32_e64 s[0:1], 31, v11
	s_nop 1
	v_cndmask_b32_e64 v8, v4, v8, s[0:1]
	v_cmp_ne_u32_e64 s[0:1], 0, v6
	s_nop 1
	v_cndmask_b32_e64 v6, 0, 1, s[0:1]
	v_lshl_or_b32 v6, v6, 9, v4
	v_cmp_eq_u32_e64 s[0:1], s12, v11
	s_nop 1
	v_cndmask_b32_e64 v6, v8, v6, s[0:1]
	s_waitcnt lgkmcnt(0)
	v_lshrrev_b32_e32 v8, 16, v12
	v_and_or_b32 v6, v7, s13, v6
	v_bitop3_b32 v7, v10, s4, v9 bitop3:0xc8
	v_mul_f16_sdwa v9, v66, v8 dst_sel:DWORD dst_unused:UNUSED_PAD src0_sel:WORD_1 src1_sel:DWORD
	v_fma_f16 v9, v66, v12, v9
	v_cvt_f32_f16_e32 v9, v9
	v_lshl_or_b32 v6, v6, 16, v7
	global_store_dword v[2:3], v6, off
	v_lshl_add_u64 v[2:3], v[2:3], 0, s[10:11]
	v_cvt_f64_f32_e32 v[6:7], v9
	v_mul_f64 v[6:7], v[6:7], s[6:7]
	v_and_or_b32 v6, v7, s15, v6
	v_cmp_ne_u32_e64 s[0:1], 0, v6
	v_lshrrev_b32_e32 v9, 8, v7
	v_bfe_u32 v10, v7, 20, 11
	v_cndmask_b32_e64 v6, 0, 1, s[0:1]
	v_and_or_b32 v6, v9, s14, v6
	v_sub_u32_e32 v11, 0x3f1, v10
	v_or_b32_e32 v9, 0x1000, v6
	v_med3_i32 v11, v11, 0, 13
	v_lshrrev_b32_e32 v13, v11, v9
	v_lshlrev_b32_e32 v11, v11, v13
	v_cmp_ne_u32_e64 s[0:1], v11, v9
	v_add_u32_e32 v10, 0xfffffc10, v10
	v_lshl_or_b32 v11, v10, 12, v6
	v_cndmask_b32_e64 v9, 0, 1, s[0:1]
	v_or_b32_e32 v9, v13, v9
	v_cmp_gt_i32_e64 s[0:1], 1, v10
	s_nop 1
	v_cndmask_b32_e64 v9, v11, v9, s[0:1]
	v_and_b32_e32 v11, 7, v9
	v_cmp_lt_i32_e64 s[0:1], 5, v11
	v_cmp_eq_u32_e64 s[2:3], 3, v11
	v_lshrrev_b32_e32 v9, 2, v9
	s_or_b64 s[0:1], s[2:3], s[0:1]
	v_mul_f16_sdwa v11, v66, v12 dst_sel:DWORD dst_unused:UNUSED_PAD src0_sel:WORD_1 src1_sel:DWORD
	v_addc_co_u32_e64 v9, s[0:1], 0, v9, s[0:1]
	v_fma_f16 v8, v66, v8, -v11
	v_cmp_gt_i32_e64 s[0:1], 31, v10
	v_cvt_f32_f16_e32 v8, v8
	s_nop 0
	v_cndmask_b32_e64 v9, v4, v9, s[0:1]
	v_cmp_ne_u32_e64 s[0:1], 0, v6
	s_nop 1
	v_cndmask_b32_e64 v6, 0, 1, s[0:1]
	v_lshl_or_b32 v6, v6, 9, v4
	v_cmp_eq_u32_e64 s[0:1], s12, v10
	v_and_b32_sdwa v10, v7, s13 dst_sel:DWORD dst_unused:UNUSED_PAD src0_sel:WORD_1 src1_sel:DWORD
	s_nop 0
	v_cndmask_b32_e64 v9, v9, v6, s[0:1]
	v_cvt_f64_f32_e32 v[6:7], v8
	v_mul_f64 v[6:7], v[6:7], s[6:7]
	v_and_or_b32 v6, v7, s15, v6
	v_cmp_ne_u32_e64 s[0:1], 0, v6
	v_lshrrev_b32_e32 v8, 8, v7
	v_bfe_u32 v11, v7, 20, 11
	v_cndmask_b32_e64 v6, 0, 1, s[0:1]
	v_and_or_b32 v6, v8, s14, v6
	v_sub_u32_e32 v12, 0x3f1, v11
	v_or_b32_e32 v8, 0x1000, v6
	v_med3_i32 v12, v12, 0, 13
	v_lshrrev_b32_e32 v13, v12, v8
	v_lshlrev_b32_e32 v12, v12, v13
	v_cmp_ne_u32_e64 s[0:1], v12, v8
	v_add_u32_e32 v11, 0xfffffc10, v11
	v_lshl_or_b32 v12, v11, 12, v6
	v_cndmask_b32_e64 v8, 0, 1, s[0:1]
	v_or_b32_e32 v8, v13, v8
	v_cmp_gt_i32_e64 s[0:1], 1, v11
	v_lshrrev_b32_e32 v7, 16, v7
	s_nop 0
	v_cndmask_b32_e64 v8, v12, v8, s[0:1]
	v_and_b32_e32 v12, 7, v8
	v_cmp_lt_i32_e64 s[0:1], 5, v12
	v_cmp_eq_u32_e64 s[2:3], 3, v12
	v_lshrrev_b32_e32 v8, 2, v8
	s_or_b64 s[0:1], s[2:3], s[0:1]
	v_addc_co_u32_e64 v8, s[0:1], 0, v8, s[0:1]
	v_cmp_gt_i32_e64 s[0:1], 31, v11
	s_nop 1
	v_cndmask_b32_e64 v8, v4, v8, s[0:1]
	v_cmp_ne_u32_e64 s[0:1], 0, v6
	s_nop 1
	v_cndmask_b32_e64 v6, 0, 1, s[0:1]
	v_lshl_or_b32 v6, v6, 9, v4
	v_cmp_eq_u32_e64 s[0:1], s12, v11
	s_nop 1
	v_cndmask_b32_e64 v6, v8, v6, s[0:1]
	v_and_or_b32 v6, v7, s13, v6
	v_bitop3_b32 v7, v10, s4, v9 bitop3:0xc8
	v_lshl_or_b32 v6, v6, 16, v7
	global_store_dword v[2:3], v6, off
	s_and_b64 exec, exec, vcc
	s_cbranch_execz .LBB0_15
; %bb.14:
	global_load_dword v6, v[38:39], off offset:52
	ds_read_b32 v7, v80 offset:52
	v_mov_b32_e32 v8, 0xfffffb84
	v_mad_u64_u32 v[2:3], s[0:1], s8, v8, v[2:3]
	s_mul_i32 s2, s9, 0xfffffb84
	s_waitcnt lgkmcnt(0)
	v_lshrrev_b32_e32 v8, 16, v7
	s_sub_i32 s0, s2, s8
	v_add_u32_e32 v3, s0, v3
	s_mov_b32 s16, 0xffff
	s_waitcnt vmcnt(0)
	v_mul_f16_sdwa v9, v8, v6 dst_sel:DWORD dst_unused:UNUSED_PAD src0_sel:DWORD src1_sel:WORD_1
	v_mul_f16_sdwa v10, v7, v6 dst_sel:DWORD dst_unused:UNUSED_PAD src0_sel:DWORD src1_sel:WORD_1
	v_fma_f16 v7, v7, v6, v9
	v_fma_f16 v6, v6, v8, -v10
	v_cvt_f32_f16_e32 v7, v7
	v_cvt_f32_f16_e32 v8, v6
	v_cvt_f64_f32_e32 v[6:7], v7
	v_cvt_f64_f32_e32 v[8:9], v8
	v_mul_f64 v[6:7], v[6:7], s[6:7]
	v_mul_f64 v[8:9], v[8:9], s[6:7]
	v_and_or_b32 v6, v7, s15, v6
	v_and_or_b32 v8, v9, s15, v8
	v_cmp_ne_u32_e32 vcc, 0, v6
	v_lshrrev_b32_e32 v10, 8, v7
	v_bfe_u32 v11, v7, 20, 11
	v_cndmask_b32_e64 v6, 0, 1, vcc
	v_cmp_ne_u32_e32 vcc, 0, v8
	v_lshrrev_b32_e32 v12, 8, v9
	v_bfe_u32 v13, v9, 20, 11
	v_sub_u32_e32 v14, 0x3f1, v11
	v_cndmask_b32_e64 v8, 0, 1, vcc
	v_and_or_b32 v6, v10, s14, v6
	v_sub_u32_e32 v15, 0x3f1, v13
	v_med3_i32 v10, v14, 0, 13
	v_and_or_b32 v8, v12, s14, v8
	v_or_b32_e32 v14, 0x1000, v6
	v_add_u32_e32 v11, 0xfffffc10, v11
	v_med3_i32 v12, v15, 0, 13
	v_cmp_ne_u32_e32 vcc, 0, v6
	v_or_b32_e32 v16, 0x1000, v8
	v_lshrrev_b32_e32 v18, v10, v14
	v_add_u32_e32 v13, 0xfffffc10, v13
	v_lshl_or_b32 v15, v11, 12, v6
	v_cndmask_b32_e64 v6, 0, 1, vcc
	v_cmp_ne_u32_e32 vcc, 0, v8
	v_lshrrev_b32_e32 v19, v12, v16
	v_lshlrev_b32_e32 v10, v10, v18
	v_lshl_or_b32 v17, v13, 12, v8
	v_cndmask_b32_e64 v8, 0, 1, vcc
	v_lshlrev_b32_e32 v12, v12, v19
	v_cmp_ne_u32_e32 vcc, v10, v14
	v_lshl_or_b32 v6, v6, 9, v4
	v_lshl_or_b32 v8, v8, 9, v4
	v_cndmask_b32_e64 v10, 0, 1, vcc
	v_cmp_ne_u32_e32 vcc, v12, v16
	v_or_b32_e32 v10, v18, v10
	v_and_b32_sdwa v7, v7, s13 dst_sel:DWORD dst_unused:UNUSED_PAD src0_sel:WORD_1 src1_sel:DWORD
	v_cndmask_b32_e64 v12, 0, 1, vcc
	v_cmp_gt_i32_e32 vcc, 1, v11
	v_or_b32_e32 v12, v19, v12
	v_lshrrev_b32_e32 v9, 16, v9
	v_cndmask_b32_e32 v10, v15, v10, vcc
	v_cmp_gt_i32_e32 vcc, 1, v13
	v_and_b32_e32 v14, 7, v10
	v_cmp_eq_u32_e64 s[0:1], 3, v14
	v_cndmask_b32_e32 v12, v17, v12, vcc
	v_cmp_lt_i32_e32 vcc, 5, v14
	v_lshrrev_b32_e32 v10, 2, v10
	v_and_b32_e32 v15, 7, v12
	s_or_b64 vcc, s[0:1], vcc
	v_cmp_lt_i32_e64 s[2:3], 5, v15
	v_cmp_eq_u32_e64 s[4:5], 3, v15
	v_addc_co_u32_e32 v10, vcc, 0, v10, vcc
	v_lshrrev_b32_e32 v12, 2, v12
	s_or_b64 vcc, s[4:5], s[2:3]
	v_addc_co_u32_e32 v12, vcc, 0, v12, vcc
	v_cmp_gt_i32_e32 vcc, 31, v11
	s_nop 1
	v_cndmask_b32_e32 v10, v4, v10, vcc
	v_cmp_gt_i32_e32 vcc, 31, v13
	s_nop 1
	v_cndmask_b32_e32 v12, v4, v12, vcc
	v_cmp_eq_u32_e32 vcc, s12, v11
	s_nop 1
	v_cndmask_b32_e32 v6, v10, v6, vcc
	v_cmp_eq_u32_e32 vcc, s12, v13
	v_bitop3_b32 v6, v7, s16, v6 bitop3:0xc8
	s_nop 0
	v_cndmask_b32_e32 v8, v12, v8, vcc
	v_and_or_b32 v8, v9, s13, v8
	v_lshl_or_b32 v6, v8, 16, v6
	global_store_dword v[2:3], v6, off
	global_load_dword v8, v[38:39], off offset:152
	ds_read2_b32 v[6:7], v41 offset0:38 offset1:63
	v_lshl_add_u64 v[2:3], v[2:3], 0, s[10:11]
	s_waitcnt lgkmcnt(0)
	v_lshrrev_b32_e32 v9, 16, v6
	s_waitcnt vmcnt(0)
	v_mul_f16_sdwa v10, v9, v8 dst_sel:DWORD dst_unused:UNUSED_PAD src0_sel:DWORD src1_sel:WORD_1
	v_mul_f16_sdwa v11, v6, v8 dst_sel:DWORD dst_unused:UNUSED_PAD src0_sel:DWORD src1_sel:WORD_1
	v_fma_f16 v6, v6, v8, v10
	v_fma_f16 v8, v8, v9, -v11
	v_cvt_f32_f16_e32 v6, v6
	v_cvt_f32_f16_e32 v10, v8
	v_cvt_f64_f32_e32 v[8:9], v6
	v_cvt_f64_f32_e32 v[10:11], v10
	v_mul_f64 v[8:9], v[8:9], s[6:7]
	v_mul_f64 v[10:11], v[10:11], s[6:7]
	v_and_or_b32 v6, v9, s15, v8
	v_and_or_b32 v10, v11, s15, v10
	v_cmp_ne_u32_e32 vcc, 0, v6
	v_lshrrev_b32_e32 v8, 8, v9
	v_bfe_u32 v12, v9, 20, 11
	v_cndmask_b32_e64 v6, 0, 1, vcc
	v_cmp_ne_u32_e32 vcc, 0, v10
	v_lshrrev_b32_e32 v13, 8, v11
	v_bfe_u32 v14, v11, 20, 11
	v_sub_u32_e32 v15, 0x3f1, v12
	v_cndmask_b32_e64 v10, 0, 1, vcc
	v_and_or_b32 v6, v8, s14, v6
	v_sub_u32_e32 v16, 0x3f1, v14
	v_med3_i32 v8, v15, 0, 13
	v_and_or_b32 v10, v13, s14, v10
	v_or_b32_e32 v15, 0x1000, v6
	v_add_u32_e32 v12, 0xfffffc10, v12
	v_med3_i32 v13, v16, 0, 13
	v_cmp_ne_u32_e32 vcc, 0, v6
	v_or_b32_e32 v17, 0x1000, v10
	v_lshrrev_b32_e32 v19, v8, v15
	v_add_u32_e32 v14, 0xfffffc10, v14
	v_lshl_or_b32 v16, v12, 12, v6
	v_cndmask_b32_e64 v6, 0, 1, vcc
	v_cmp_ne_u32_e32 vcc, 0, v10
	v_lshrrev_b32_e32 v20, v13, v17
	v_lshlrev_b32_e32 v8, v8, v19
	v_lshl_or_b32 v18, v14, 12, v10
	v_cndmask_b32_e64 v10, 0, 1, vcc
	v_lshlrev_b32_e32 v13, v13, v20
	v_cmp_ne_u32_e32 vcc, v8, v15
	v_lshl_or_b32 v6, v6, 9, v4
	v_lshl_or_b32 v10, v10, 9, v4
	v_cndmask_b32_e64 v8, 0, 1, vcc
	v_cmp_ne_u32_e32 vcc, v13, v17
	v_or_b32_e32 v8, v19, v8
	v_and_b32_sdwa v9, v9, s13 dst_sel:DWORD dst_unused:UNUSED_PAD src0_sel:WORD_1 src1_sel:DWORD
	v_cndmask_b32_e64 v13, 0, 1, vcc
	v_cmp_gt_i32_e32 vcc, 1, v12
	v_or_b32_e32 v13, v20, v13
	v_lshrrev_b32_e32 v11, 16, v11
	v_cndmask_b32_e32 v8, v16, v8, vcc
	v_cmp_gt_i32_e32 vcc, 1, v14
	v_and_b32_e32 v15, 7, v8
	v_cmp_eq_u32_e64 s[0:1], 3, v15
	v_cndmask_b32_e32 v13, v18, v13, vcc
	v_cmp_lt_i32_e32 vcc, 5, v15
	v_lshrrev_b32_e32 v8, 2, v8
	v_and_b32_e32 v16, 7, v13
	s_or_b64 vcc, s[0:1], vcc
	v_cmp_lt_i32_e64 s[2:3], 5, v16
	v_cmp_eq_u32_e64 s[4:5], 3, v16
	v_addc_co_u32_e32 v8, vcc, 0, v8, vcc
	v_lshrrev_b32_e32 v13, 2, v13
	s_or_b64 vcc, s[4:5], s[2:3]
	v_addc_co_u32_e32 v13, vcc, 0, v13, vcc
	v_cmp_gt_i32_e32 vcc, 31, v12
	s_nop 1
	v_cndmask_b32_e32 v8, v4, v8, vcc
	v_cmp_gt_i32_e32 vcc, 31, v14
	s_nop 1
	v_cndmask_b32_e32 v13, v4, v13, vcc
	v_cmp_eq_u32_e32 vcc, s12, v12
	s_nop 1
	v_cndmask_b32_e32 v6, v8, v6, vcc
	v_cmp_eq_u32_e32 vcc, s12, v14
	v_bitop3_b32 v6, v9, s16, v6 bitop3:0xc8
	s_nop 0
	v_cndmask_b32_e32 v8, v13, v10, vcc
	v_and_or_b32 v8, v11, s13, v8
	v_lshl_or_b32 v6, v8, 16, v6
	global_store_dword v[2:3], v6, off
	global_load_dword v6, v[38:39], off offset:252
	v_lshrrev_b32_e32 v8, 16, v7
	v_lshl_add_u64 v[2:3], v[2:3], 0, s[10:11]
	s_waitcnt vmcnt(0)
	v_mul_f16_sdwa v9, v8, v6 dst_sel:DWORD dst_unused:UNUSED_PAD src0_sel:DWORD src1_sel:WORD_1
	v_mul_f16_sdwa v10, v7, v6 dst_sel:DWORD dst_unused:UNUSED_PAD src0_sel:DWORD src1_sel:WORD_1
	v_fma_f16 v7, v7, v6, v9
	v_fma_f16 v6, v6, v8, -v10
	v_cvt_f32_f16_e32 v7, v7
	v_cvt_f32_f16_e32 v8, v6
	v_cvt_f64_f32_e32 v[6:7], v7
	v_cvt_f64_f32_e32 v[8:9], v8
	v_mul_f64 v[6:7], v[6:7], s[6:7]
	v_mul_f64 v[8:9], v[8:9], s[6:7]
	v_and_or_b32 v6, v7, s15, v6
	v_and_or_b32 v8, v9, s15, v8
	v_cmp_ne_u32_e32 vcc, 0, v6
	v_lshrrev_b32_e32 v10, 8, v7
	v_bfe_u32 v11, v7, 20, 11
	v_cndmask_b32_e64 v6, 0, 1, vcc
	v_cmp_ne_u32_e32 vcc, 0, v8
	v_lshrrev_b32_e32 v12, 8, v9
	v_bfe_u32 v13, v9, 20, 11
	v_sub_u32_e32 v14, 0x3f1, v11
	v_cndmask_b32_e64 v8, 0, 1, vcc
	v_and_or_b32 v6, v10, s14, v6
	v_sub_u32_e32 v15, 0x3f1, v13
	v_med3_i32 v10, v14, 0, 13
	v_and_or_b32 v8, v12, s14, v8
	v_or_b32_e32 v14, 0x1000, v6
	v_add_u32_e32 v11, 0xfffffc10, v11
	v_med3_i32 v12, v15, 0, 13
	v_cmp_ne_u32_e32 vcc, 0, v6
	v_or_b32_e32 v16, 0x1000, v8
	v_lshrrev_b32_e32 v18, v10, v14
	v_add_u32_e32 v13, 0xfffffc10, v13
	v_lshl_or_b32 v15, v11, 12, v6
	v_cndmask_b32_e64 v6, 0, 1, vcc
	v_cmp_ne_u32_e32 vcc, 0, v8
	v_lshrrev_b32_e32 v19, v12, v16
	v_lshlrev_b32_e32 v10, v10, v18
	v_lshl_or_b32 v17, v13, 12, v8
	v_cndmask_b32_e64 v8, 0, 1, vcc
	v_lshlrev_b32_e32 v12, v12, v19
	v_cmp_ne_u32_e32 vcc, v10, v14
	v_lshl_or_b32 v6, v6, 9, v4
	v_lshl_or_b32 v8, v8, 9, v4
	v_cndmask_b32_e64 v10, 0, 1, vcc
	v_cmp_ne_u32_e32 vcc, v12, v16
	v_or_b32_e32 v10, v18, v10
	v_and_b32_sdwa v7, v7, s13 dst_sel:DWORD dst_unused:UNUSED_PAD src0_sel:WORD_1 src1_sel:DWORD
	v_cndmask_b32_e64 v12, 0, 1, vcc
	v_cmp_gt_i32_e32 vcc, 1, v11
	v_or_b32_e32 v12, v19, v12
	v_lshrrev_b32_e32 v9, 16, v9
	v_cndmask_b32_e32 v10, v15, v10, vcc
	v_cmp_gt_i32_e32 vcc, 1, v13
	v_and_b32_e32 v14, 7, v10
	v_cmp_eq_u32_e64 s[0:1], 3, v14
	v_cndmask_b32_e32 v12, v17, v12, vcc
	v_cmp_lt_i32_e32 vcc, 5, v14
	v_lshrrev_b32_e32 v10, 2, v10
	v_and_b32_e32 v15, 7, v12
	s_or_b64 vcc, s[0:1], vcc
	v_cmp_lt_i32_e64 s[2:3], 5, v15
	v_cmp_eq_u32_e64 s[4:5], 3, v15
	v_addc_co_u32_e32 v10, vcc, 0, v10, vcc
	v_lshrrev_b32_e32 v12, 2, v12
	s_or_b64 vcc, s[4:5], s[2:3]
	v_addc_co_u32_e32 v12, vcc, 0, v12, vcc
	v_cmp_gt_i32_e32 vcc, 31, v11
	s_nop 1
	v_cndmask_b32_e32 v10, v4, v10, vcc
	v_cmp_gt_i32_e32 vcc, 31, v13
	s_nop 1
	v_cndmask_b32_e32 v12, v4, v12, vcc
	v_cmp_eq_u32_e32 vcc, s12, v11
	s_nop 1
	v_cndmask_b32_e32 v6, v10, v6, vcc
	v_cmp_eq_u32_e32 vcc, s12, v13
	v_bitop3_b32 v6, v7, s16, v6 bitop3:0xc8
	s_nop 0
	v_cndmask_b32_e32 v8, v12, v8, vcc
	v_and_or_b32 v8, v9, s13, v8
	v_lshl_or_b32 v6, v8, 16, v6
	global_store_dword v[2:3], v6, off
	global_load_dword v8, v[38:39], off offset:352
	ds_read2_b32 v[6:7], v41 offset0:88 offset1:113
	v_lshl_add_u64 v[2:3], v[2:3], 0, s[10:11]
	s_waitcnt lgkmcnt(0)
	v_lshrrev_b32_e32 v9, 16, v6
	s_waitcnt vmcnt(0)
	v_mul_f16_sdwa v10, v9, v8 dst_sel:DWORD dst_unused:UNUSED_PAD src0_sel:DWORD src1_sel:WORD_1
	v_mul_f16_sdwa v11, v6, v8 dst_sel:DWORD dst_unused:UNUSED_PAD src0_sel:DWORD src1_sel:WORD_1
	v_fma_f16 v6, v6, v8, v10
	v_fma_f16 v8, v8, v9, -v11
	v_cvt_f32_f16_e32 v6, v6
	v_cvt_f32_f16_e32 v10, v8
	v_cvt_f64_f32_e32 v[8:9], v6
	v_cvt_f64_f32_e32 v[10:11], v10
	v_mul_f64 v[8:9], v[8:9], s[6:7]
	v_mul_f64 v[10:11], v[10:11], s[6:7]
	v_and_or_b32 v6, v9, s15, v8
	v_and_or_b32 v10, v11, s15, v10
	v_cmp_ne_u32_e32 vcc, 0, v6
	v_lshrrev_b32_e32 v8, 8, v9
	v_bfe_u32 v12, v9, 20, 11
	v_cndmask_b32_e64 v6, 0, 1, vcc
	v_cmp_ne_u32_e32 vcc, 0, v10
	v_lshrrev_b32_e32 v13, 8, v11
	v_bfe_u32 v14, v11, 20, 11
	v_sub_u32_e32 v15, 0x3f1, v12
	v_cndmask_b32_e64 v10, 0, 1, vcc
	v_and_or_b32 v6, v8, s14, v6
	v_sub_u32_e32 v16, 0x3f1, v14
	v_med3_i32 v8, v15, 0, 13
	v_and_or_b32 v10, v13, s14, v10
	v_or_b32_e32 v15, 0x1000, v6
	v_add_u32_e32 v12, 0xfffffc10, v12
	v_med3_i32 v13, v16, 0, 13
	v_cmp_ne_u32_e32 vcc, 0, v6
	v_or_b32_e32 v17, 0x1000, v10
	v_lshrrev_b32_e32 v19, v8, v15
	v_add_u32_e32 v14, 0xfffffc10, v14
	v_lshl_or_b32 v16, v12, 12, v6
	v_cndmask_b32_e64 v6, 0, 1, vcc
	v_cmp_ne_u32_e32 vcc, 0, v10
	v_lshrrev_b32_e32 v20, v13, v17
	v_lshlrev_b32_e32 v8, v8, v19
	v_lshl_or_b32 v18, v14, 12, v10
	v_cndmask_b32_e64 v10, 0, 1, vcc
	v_lshlrev_b32_e32 v13, v13, v20
	v_cmp_ne_u32_e32 vcc, v8, v15
	v_lshl_or_b32 v6, v6, 9, v4
	v_lshl_or_b32 v10, v10, 9, v4
	v_cndmask_b32_e64 v8, 0, 1, vcc
	v_cmp_ne_u32_e32 vcc, v13, v17
	v_or_b32_e32 v8, v19, v8
	v_and_b32_sdwa v9, v9, s13 dst_sel:DWORD dst_unused:UNUSED_PAD src0_sel:WORD_1 src1_sel:DWORD
	v_cndmask_b32_e64 v13, 0, 1, vcc
	v_cmp_gt_i32_e32 vcc, 1, v12
	v_or_b32_e32 v13, v20, v13
	v_lshrrev_b32_e32 v11, 16, v11
	v_cndmask_b32_e32 v8, v16, v8, vcc
	v_cmp_gt_i32_e32 vcc, 1, v14
	v_and_b32_e32 v15, 7, v8
	v_cmp_eq_u32_e64 s[0:1], 3, v15
	v_cndmask_b32_e32 v13, v18, v13, vcc
	v_cmp_lt_i32_e32 vcc, 5, v15
	v_lshrrev_b32_e32 v8, 2, v8
	v_and_b32_e32 v16, 7, v13
	s_or_b64 vcc, s[0:1], vcc
	v_cmp_lt_i32_e64 s[2:3], 5, v16
	v_cmp_eq_u32_e64 s[4:5], 3, v16
	v_addc_co_u32_e32 v8, vcc, 0, v8, vcc
	v_lshrrev_b32_e32 v13, 2, v13
	s_or_b64 vcc, s[4:5], s[2:3]
	v_addc_co_u32_e32 v13, vcc, 0, v13, vcc
	v_cmp_gt_i32_e32 vcc, 31, v12
	s_nop 1
	v_cndmask_b32_e32 v8, v4, v8, vcc
	v_cmp_gt_i32_e32 vcc, 31, v14
	s_nop 1
	v_cndmask_b32_e32 v13, v4, v13, vcc
	v_cmp_eq_u32_e32 vcc, s12, v12
	s_nop 1
	v_cndmask_b32_e32 v6, v8, v6, vcc
	v_cmp_eq_u32_e32 vcc, s12, v14
	v_bitop3_b32 v6, v9, s16, v6 bitop3:0xc8
	s_nop 0
	v_cndmask_b32_e32 v8, v13, v10, vcc
	v_and_or_b32 v8, v11, s13, v8
	v_lshl_or_b32 v6, v8, 16, v6
	global_store_dword v[2:3], v6, off
	global_load_dword v6, v[38:39], off offset:452
	v_lshrrev_b32_e32 v8, 16, v7
	v_lshl_add_u64 v[2:3], v[2:3], 0, s[10:11]
	s_waitcnt vmcnt(0)
	v_mul_f16_sdwa v9, v8, v6 dst_sel:DWORD dst_unused:UNUSED_PAD src0_sel:DWORD src1_sel:WORD_1
	v_mul_f16_sdwa v10, v7, v6 dst_sel:DWORD dst_unused:UNUSED_PAD src0_sel:DWORD src1_sel:WORD_1
	v_fma_f16 v7, v7, v6, v9
	v_fma_f16 v6, v6, v8, -v10
	v_cvt_f32_f16_e32 v7, v7
	v_cvt_f32_f16_e32 v8, v6
	v_cvt_f64_f32_e32 v[6:7], v7
	v_cvt_f64_f32_e32 v[8:9], v8
	v_mul_f64 v[6:7], v[6:7], s[6:7]
	v_mul_f64 v[8:9], v[8:9], s[6:7]
	v_and_or_b32 v6, v7, s15, v6
	v_and_or_b32 v8, v9, s15, v8
	v_cmp_ne_u32_e32 vcc, 0, v6
	v_lshrrev_b32_e32 v10, 8, v7
	v_bfe_u32 v11, v7, 20, 11
	v_cndmask_b32_e64 v6, 0, 1, vcc
	v_cmp_ne_u32_e32 vcc, 0, v8
	v_lshrrev_b32_e32 v12, 8, v9
	v_bfe_u32 v13, v9, 20, 11
	v_sub_u32_e32 v14, 0x3f1, v11
	v_cndmask_b32_e64 v8, 0, 1, vcc
	v_and_or_b32 v6, v10, s14, v6
	v_sub_u32_e32 v15, 0x3f1, v13
	v_med3_i32 v10, v14, 0, 13
	v_and_or_b32 v8, v12, s14, v8
	v_or_b32_e32 v14, 0x1000, v6
	v_add_u32_e32 v11, 0xfffffc10, v11
	v_med3_i32 v12, v15, 0, 13
	v_cmp_ne_u32_e32 vcc, 0, v6
	v_or_b32_e32 v16, 0x1000, v8
	v_lshrrev_b32_e32 v18, v10, v14
	v_add_u32_e32 v13, 0xfffffc10, v13
	v_lshl_or_b32 v15, v11, 12, v6
	v_cndmask_b32_e64 v6, 0, 1, vcc
	v_cmp_ne_u32_e32 vcc, 0, v8
	v_lshrrev_b32_e32 v19, v12, v16
	v_lshlrev_b32_e32 v10, v10, v18
	v_lshl_or_b32 v17, v13, 12, v8
	v_cndmask_b32_e64 v8, 0, 1, vcc
	v_lshlrev_b32_e32 v12, v12, v19
	v_cmp_ne_u32_e32 vcc, v10, v14
	v_lshl_or_b32 v6, v6, 9, v4
	v_lshl_or_b32 v8, v8, 9, v4
	v_cndmask_b32_e64 v10, 0, 1, vcc
	v_cmp_ne_u32_e32 vcc, v12, v16
	v_or_b32_e32 v10, v18, v10
	v_and_b32_sdwa v7, v7, s13 dst_sel:DWORD dst_unused:UNUSED_PAD src0_sel:WORD_1 src1_sel:DWORD
	v_cndmask_b32_e64 v12, 0, 1, vcc
	v_cmp_gt_i32_e32 vcc, 1, v11
	v_or_b32_e32 v12, v19, v12
	v_lshrrev_b32_e32 v9, 16, v9
	v_cndmask_b32_e32 v10, v15, v10, vcc
	v_cmp_gt_i32_e32 vcc, 1, v13
	v_and_b32_e32 v14, 7, v10
	v_cmp_eq_u32_e64 s[0:1], 3, v14
	v_cndmask_b32_e32 v12, v17, v12, vcc
	v_cmp_lt_i32_e32 vcc, 5, v14
	v_lshrrev_b32_e32 v10, 2, v10
	v_and_b32_e32 v15, 7, v12
	s_or_b64 vcc, s[0:1], vcc
	v_cmp_lt_i32_e64 s[2:3], 5, v15
	v_cmp_eq_u32_e64 s[4:5], 3, v15
	v_addc_co_u32_e32 v10, vcc, 0, v10, vcc
	v_lshrrev_b32_e32 v12, 2, v12
	s_or_b64 vcc, s[4:5], s[2:3]
	v_addc_co_u32_e32 v12, vcc, 0, v12, vcc
	v_cmp_gt_i32_e32 vcc, 31, v11
	s_nop 1
	v_cndmask_b32_e32 v10, v4, v10, vcc
	v_cmp_gt_i32_e32 vcc, 31, v13
	s_nop 1
	v_cndmask_b32_e32 v12, v4, v12, vcc
	v_cmp_eq_u32_e32 vcc, s12, v11
	s_nop 1
	v_cndmask_b32_e32 v6, v10, v6, vcc
	v_cmp_eq_u32_e32 vcc, s12, v13
	v_bitop3_b32 v6, v7, s16, v6 bitop3:0xc8
	s_nop 0
	v_cndmask_b32_e32 v8, v12, v8, vcc
	v_and_or_b32 v8, v9, s13, v8
	v_lshl_or_b32 v6, v8, 16, v6
	global_store_dword v[2:3], v6, off
	global_load_dword v8, v[38:39], off offset:552
	ds_read2_b32 v[6:7], v41 offset0:138 offset1:163
	v_lshl_add_u64 v[2:3], v[2:3], 0, s[10:11]
	s_waitcnt lgkmcnt(0)
	v_lshrrev_b32_e32 v9, 16, v6
	s_waitcnt vmcnt(0)
	v_mul_f16_sdwa v10, v9, v8 dst_sel:DWORD dst_unused:UNUSED_PAD src0_sel:DWORD src1_sel:WORD_1
	v_mul_f16_sdwa v11, v6, v8 dst_sel:DWORD dst_unused:UNUSED_PAD src0_sel:DWORD src1_sel:WORD_1
	v_fma_f16 v6, v6, v8, v10
	v_fma_f16 v8, v8, v9, -v11
	v_cvt_f32_f16_e32 v6, v6
	v_cvt_f32_f16_e32 v10, v8
	v_cvt_f64_f32_e32 v[8:9], v6
	v_cvt_f64_f32_e32 v[10:11], v10
	v_mul_f64 v[8:9], v[8:9], s[6:7]
	v_mul_f64 v[10:11], v[10:11], s[6:7]
	v_and_or_b32 v6, v9, s15, v8
	v_and_or_b32 v10, v11, s15, v10
	v_cmp_ne_u32_e32 vcc, 0, v6
	v_lshrrev_b32_e32 v8, 8, v9
	v_bfe_u32 v12, v9, 20, 11
	v_cndmask_b32_e64 v6, 0, 1, vcc
	v_cmp_ne_u32_e32 vcc, 0, v10
	v_lshrrev_b32_e32 v13, 8, v11
	v_bfe_u32 v14, v11, 20, 11
	v_sub_u32_e32 v15, 0x3f1, v12
	v_cndmask_b32_e64 v10, 0, 1, vcc
	v_and_or_b32 v6, v8, s14, v6
	v_sub_u32_e32 v16, 0x3f1, v14
	v_med3_i32 v8, v15, 0, 13
	v_and_or_b32 v10, v13, s14, v10
	v_or_b32_e32 v15, 0x1000, v6
	v_add_u32_e32 v12, 0xfffffc10, v12
	v_med3_i32 v13, v16, 0, 13
	v_cmp_ne_u32_e32 vcc, 0, v6
	v_or_b32_e32 v17, 0x1000, v10
	v_lshrrev_b32_e32 v19, v8, v15
	v_add_u32_e32 v14, 0xfffffc10, v14
	v_lshl_or_b32 v16, v12, 12, v6
	v_cndmask_b32_e64 v6, 0, 1, vcc
	v_cmp_ne_u32_e32 vcc, 0, v10
	v_lshrrev_b32_e32 v20, v13, v17
	v_lshlrev_b32_e32 v8, v8, v19
	v_lshl_or_b32 v18, v14, 12, v10
	v_cndmask_b32_e64 v10, 0, 1, vcc
	v_lshlrev_b32_e32 v13, v13, v20
	v_cmp_ne_u32_e32 vcc, v8, v15
	v_lshl_or_b32 v6, v6, 9, v4
	v_lshl_or_b32 v10, v10, 9, v4
	v_cndmask_b32_e64 v8, 0, 1, vcc
	v_cmp_ne_u32_e32 vcc, v13, v17
	v_or_b32_e32 v8, v19, v8
	v_and_b32_sdwa v9, v9, s13 dst_sel:DWORD dst_unused:UNUSED_PAD src0_sel:WORD_1 src1_sel:DWORD
	v_cndmask_b32_e64 v13, 0, 1, vcc
	v_cmp_gt_i32_e32 vcc, 1, v12
	v_or_b32_e32 v13, v20, v13
	v_lshrrev_b32_e32 v11, 16, v11
	v_cndmask_b32_e32 v8, v16, v8, vcc
	v_cmp_gt_i32_e32 vcc, 1, v14
	v_and_b32_e32 v15, 7, v8
	v_cmp_eq_u32_e64 s[0:1], 3, v15
	v_cndmask_b32_e32 v13, v18, v13, vcc
	v_cmp_lt_i32_e32 vcc, 5, v15
	v_lshrrev_b32_e32 v8, 2, v8
	v_and_b32_e32 v16, 7, v13
	s_or_b64 vcc, s[0:1], vcc
	v_cmp_lt_i32_e64 s[2:3], 5, v16
	v_cmp_eq_u32_e64 s[4:5], 3, v16
	v_addc_co_u32_e32 v8, vcc, 0, v8, vcc
	v_lshrrev_b32_e32 v13, 2, v13
	s_or_b64 vcc, s[4:5], s[2:3]
	v_addc_co_u32_e32 v13, vcc, 0, v13, vcc
	v_cmp_gt_i32_e32 vcc, 31, v12
	s_nop 1
	v_cndmask_b32_e32 v8, v4, v8, vcc
	v_cmp_gt_i32_e32 vcc, 31, v14
	s_nop 1
	v_cndmask_b32_e32 v13, v4, v13, vcc
	v_cmp_eq_u32_e32 vcc, s12, v12
	s_nop 1
	v_cndmask_b32_e32 v6, v8, v6, vcc
	v_cmp_eq_u32_e32 vcc, s12, v14
	v_bitop3_b32 v6, v9, s16, v6 bitop3:0xc8
	s_nop 0
	v_cndmask_b32_e32 v8, v13, v10, vcc
	v_and_or_b32 v8, v11, s13, v8
	v_lshl_or_b32 v6, v8, 16, v6
	global_store_dword v[2:3], v6, off
	global_load_dword v6, v[38:39], off offset:652
	v_lshrrev_b32_e32 v8, 16, v7
	v_lshl_add_u64 v[2:3], v[2:3], 0, s[10:11]
	s_waitcnt vmcnt(0)
	v_mul_f16_sdwa v9, v8, v6 dst_sel:DWORD dst_unused:UNUSED_PAD src0_sel:DWORD src1_sel:WORD_1
	v_mul_f16_sdwa v10, v7, v6 dst_sel:DWORD dst_unused:UNUSED_PAD src0_sel:DWORD src1_sel:WORD_1
	v_fma_f16 v7, v7, v6, v9
	v_fma_f16 v6, v6, v8, -v10
	v_cvt_f32_f16_e32 v7, v7
	v_cvt_f32_f16_e32 v8, v6
	v_cvt_f64_f32_e32 v[6:7], v7
	v_cvt_f64_f32_e32 v[8:9], v8
	v_mul_f64 v[6:7], v[6:7], s[6:7]
	v_mul_f64 v[8:9], v[8:9], s[6:7]
	v_and_or_b32 v6, v7, s15, v6
	v_and_or_b32 v8, v9, s15, v8
	v_cmp_ne_u32_e32 vcc, 0, v6
	v_lshrrev_b32_e32 v10, 8, v7
	v_bfe_u32 v11, v7, 20, 11
	v_cndmask_b32_e64 v6, 0, 1, vcc
	v_cmp_ne_u32_e32 vcc, 0, v8
	v_lshrrev_b32_e32 v12, 8, v9
	v_bfe_u32 v13, v9, 20, 11
	v_sub_u32_e32 v14, 0x3f1, v11
	v_cndmask_b32_e64 v8, 0, 1, vcc
	v_and_or_b32 v6, v10, s14, v6
	v_sub_u32_e32 v15, 0x3f1, v13
	v_med3_i32 v10, v14, 0, 13
	v_and_or_b32 v8, v12, s14, v8
	v_or_b32_e32 v14, 0x1000, v6
	v_add_u32_e32 v11, 0xfffffc10, v11
	v_med3_i32 v12, v15, 0, 13
	v_cmp_ne_u32_e32 vcc, 0, v6
	v_or_b32_e32 v16, 0x1000, v8
	v_lshrrev_b32_e32 v18, v10, v14
	v_add_u32_e32 v13, 0xfffffc10, v13
	v_lshl_or_b32 v15, v11, 12, v6
	v_cndmask_b32_e64 v6, 0, 1, vcc
	v_cmp_ne_u32_e32 vcc, 0, v8
	v_lshrrev_b32_e32 v19, v12, v16
	v_lshlrev_b32_e32 v10, v10, v18
	v_lshl_or_b32 v17, v13, 12, v8
	v_cndmask_b32_e64 v8, 0, 1, vcc
	v_lshlrev_b32_e32 v12, v12, v19
	v_cmp_ne_u32_e32 vcc, v10, v14
	v_lshl_or_b32 v6, v6, 9, v4
	v_lshl_or_b32 v8, v8, 9, v4
	v_cndmask_b32_e64 v10, 0, 1, vcc
	v_cmp_ne_u32_e32 vcc, v12, v16
	v_or_b32_e32 v10, v18, v10
	v_and_b32_sdwa v7, v7, s13 dst_sel:DWORD dst_unused:UNUSED_PAD src0_sel:WORD_1 src1_sel:DWORD
	v_cndmask_b32_e64 v12, 0, 1, vcc
	v_cmp_gt_i32_e32 vcc, 1, v11
	v_or_b32_e32 v12, v19, v12
	v_lshrrev_b32_e32 v9, 16, v9
	v_cndmask_b32_e32 v10, v15, v10, vcc
	v_cmp_gt_i32_e32 vcc, 1, v13
	v_and_b32_e32 v14, 7, v10
	v_cmp_eq_u32_e64 s[0:1], 3, v14
	v_cndmask_b32_e32 v12, v17, v12, vcc
	v_cmp_lt_i32_e32 vcc, 5, v14
	v_lshrrev_b32_e32 v10, 2, v10
	v_and_b32_e32 v15, 7, v12
	s_or_b64 vcc, s[0:1], vcc
	v_cmp_lt_i32_e64 s[2:3], 5, v15
	v_cmp_eq_u32_e64 s[4:5], 3, v15
	v_addc_co_u32_e32 v10, vcc, 0, v10, vcc
	v_lshrrev_b32_e32 v12, 2, v12
	s_or_b64 vcc, s[4:5], s[2:3]
	v_addc_co_u32_e32 v12, vcc, 0, v12, vcc
	v_cmp_gt_i32_e32 vcc, 31, v11
	s_nop 1
	v_cndmask_b32_e32 v10, v4, v10, vcc
	v_cmp_gt_i32_e32 vcc, 31, v13
	s_nop 1
	v_cndmask_b32_e32 v12, v4, v12, vcc
	v_cmp_eq_u32_e32 vcc, s12, v11
	s_nop 1
	v_cndmask_b32_e32 v6, v10, v6, vcc
	v_cmp_eq_u32_e32 vcc, s12, v13
	v_bitop3_b32 v6, v7, s16, v6 bitop3:0xc8
	s_nop 0
	v_cndmask_b32_e32 v8, v12, v8, vcc
	v_and_or_b32 v8, v9, s13, v8
	v_lshl_or_b32 v6, v8, 16, v6
	global_store_dword v[2:3], v6, off
	global_load_dword v8, v[38:39], off offset:752
	ds_read2_b32 v[6:7], v41 offset0:188 offset1:213
	v_lshl_add_u64 v[2:3], v[2:3], 0, s[10:11]
	s_waitcnt lgkmcnt(0)
	v_lshrrev_b32_e32 v9, 16, v6
	s_waitcnt vmcnt(0)
	v_mul_f16_sdwa v10, v9, v8 dst_sel:DWORD dst_unused:UNUSED_PAD src0_sel:DWORD src1_sel:WORD_1
	v_mul_f16_sdwa v11, v6, v8 dst_sel:DWORD dst_unused:UNUSED_PAD src0_sel:DWORD src1_sel:WORD_1
	v_fma_f16 v6, v6, v8, v10
	v_fma_f16 v8, v8, v9, -v11
	v_cvt_f32_f16_e32 v6, v6
	v_cvt_f32_f16_e32 v10, v8
	v_cvt_f64_f32_e32 v[8:9], v6
	v_cvt_f64_f32_e32 v[10:11], v10
	v_mul_f64 v[8:9], v[8:9], s[6:7]
	v_mul_f64 v[10:11], v[10:11], s[6:7]
	v_and_or_b32 v6, v9, s15, v8
	v_and_or_b32 v10, v11, s15, v10
	v_cmp_ne_u32_e32 vcc, 0, v6
	v_lshrrev_b32_e32 v8, 8, v9
	v_bfe_u32 v12, v9, 20, 11
	v_cndmask_b32_e64 v6, 0, 1, vcc
	v_cmp_ne_u32_e32 vcc, 0, v10
	v_lshrrev_b32_e32 v13, 8, v11
	v_bfe_u32 v14, v11, 20, 11
	v_sub_u32_e32 v15, 0x3f1, v12
	v_cndmask_b32_e64 v10, 0, 1, vcc
	v_and_or_b32 v6, v8, s14, v6
	v_sub_u32_e32 v16, 0x3f1, v14
	v_med3_i32 v8, v15, 0, 13
	v_and_or_b32 v10, v13, s14, v10
	v_or_b32_e32 v15, 0x1000, v6
	v_add_u32_e32 v12, 0xfffffc10, v12
	v_med3_i32 v13, v16, 0, 13
	v_cmp_ne_u32_e32 vcc, 0, v6
	v_or_b32_e32 v17, 0x1000, v10
	v_lshrrev_b32_e32 v19, v8, v15
	v_add_u32_e32 v14, 0xfffffc10, v14
	v_lshl_or_b32 v16, v12, 12, v6
	v_cndmask_b32_e64 v6, 0, 1, vcc
	v_cmp_ne_u32_e32 vcc, 0, v10
	v_lshrrev_b32_e32 v20, v13, v17
	v_lshlrev_b32_e32 v8, v8, v19
	v_lshl_or_b32 v18, v14, 12, v10
	v_cndmask_b32_e64 v10, 0, 1, vcc
	v_lshlrev_b32_e32 v13, v13, v20
	v_cmp_ne_u32_e32 vcc, v8, v15
	v_lshl_or_b32 v6, v6, 9, v4
	v_lshl_or_b32 v10, v10, 9, v4
	v_cndmask_b32_e64 v8, 0, 1, vcc
	v_cmp_ne_u32_e32 vcc, v13, v17
	v_or_b32_e32 v8, v19, v8
	v_and_b32_sdwa v9, v9, s13 dst_sel:DWORD dst_unused:UNUSED_PAD src0_sel:WORD_1 src1_sel:DWORD
	v_cndmask_b32_e64 v13, 0, 1, vcc
	v_cmp_gt_i32_e32 vcc, 1, v12
	v_or_b32_e32 v13, v20, v13
	v_lshrrev_b32_e32 v11, 16, v11
	v_cndmask_b32_e32 v8, v16, v8, vcc
	v_cmp_gt_i32_e32 vcc, 1, v14
	v_and_b32_e32 v15, 7, v8
	v_cmp_eq_u32_e64 s[0:1], 3, v15
	v_cndmask_b32_e32 v13, v18, v13, vcc
	v_cmp_lt_i32_e32 vcc, 5, v15
	v_lshrrev_b32_e32 v8, 2, v8
	v_and_b32_e32 v16, 7, v13
	s_or_b64 vcc, s[0:1], vcc
	v_cmp_lt_i32_e64 s[2:3], 5, v16
	v_cmp_eq_u32_e64 s[4:5], 3, v16
	v_addc_co_u32_e32 v8, vcc, 0, v8, vcc
	v_lshrrev_b32_e32 v13, 2, v13
	s_or_b64 vcc, s[4:5], s[2:3]
	v_addc_co_u32_e32 v13, vcc, 0, v13, vcc
	v_cmp_gt_i32_e32 vcc, 31, v12
	s_nop 1
	v_cndmask_b32_e32 v8, v4, v8, vcc
	v_cmp_gt_i32_e32 vcc, 31, v14
	s_nop 1
	v_cndmask_b32_e32 v13, v4, v13, vcc
	v_cmp_eq_u32_e32 vcc, s12, v12
	s_nop 1
	v_cndmask_b32_e32 v6, v8, v6, vcc
	v_cmp_eq_u32_e32 vcc, s12, v14
	v_bitop3_b32 v6, v9, s16, v6 bitop3:0xc8
	s_nop 0
	v_cndmask_b32_e32 v8, v13, v10, vcc
	v_and_or_b32 v8, v11, s13, v8
	v_lshl_or_b32 v6, v8, 16, v6
	global_store_dword v[2:3], v6, off
	global_load_dword v6, v[38:39], off offset:852
	v_lshrrev_b32_e32 v8, 16, v7
	v_lshl_add_u64 v[2:3], v[2:3], 0, s[10:11]
	s_waitcnt vmcnt(0)
	v_mul_f16_sdwa v9, v8, v6 dst_sel:DWORD dst_unused:UNUSED_PAD src0_sel:DWORD src1_sel:WORD_1
	v_mul_f16_sdwa v10, v7, v6 dst_sel:DWORD dst_unused:UNUSED_PAD src0_sel:DWORD src1_sel:WORD_1
	v_fma_f16 v7, v7, v6, v9
	v_fma_f16 v6, v6, v8, -v10
	v_cvt_f32_f16_e32 v7, v7
	v_cvt_f32_f16_e32 v8, v6
	v_cvt_f64_f32_e32 v[6:7], v7
	v_cvt_f64_f32_e32 v[8:9], v8
	v_mul_f64 v[6:7], v[6:7], s[6:7]
	v_mul_f64 v[8:9], v[8:9], s[6:7]
	v_and_or_b32 v6, v7, s15, v6
	v_and_or_b32 v8, v9, s15, v8
	v_cmp_ne_u32_e32 vcc, 0, v6
	v_lshrrev_b32_e32 v10, 8, v7
	v_bfe_u32 v11, v7, 20, 11
	v_cndmask_b32_e64 v6, 0, 1, vcc
	v_cmp_ne_u32_e32 vcc, 0, v8
	v_lshrrev_b32_e32 v12, 8, v9
	v_bfe_u32 v13, v9, 20, 11
	v_sub_u32_e32 v14, 0x3f1, v11
	v_cndmask_b32_e64 v8, 0, 1, vcc
	v_and_or_b32 v6, v10, s14, v6
	v_sub_u32_e32 v15, 0x3f1, v13
	v_med3_i32 v10, v14, 0, 13
	v_and_or_b32 v8, v12, s14, v8
	v_or_b32_e32 v14, 0x1000, v6
	v_add_u32_e32 v11, 0xfffffc10, v11
	v_med3_i32 v12, v15, 0, 13
	v_cmp_ne_u32_e32 vcc, 0, v6
	v_or_b32_e32 v16, 0x1000, v8
	v_lshrrev_b32_e32 v18, v10, v14
	v_add_u32_e32 v13, 0xfffffc10, v13
	v_lshl_or_b32 v15, v11, 12, v6
	v_cndmask_b32_e64 v6, 0, 1, vcc
	v_cmp_ne_u32_e32 vcc, 0, v8
	v_lshrrev_b32_e32 v19, v12, v16
	v_lshlrev_b32_e32 v10, v10, v18
	v_lshl_or_b32 v17, v13, 12, v8
	v_cndmask_b32_e64 v8, 0, 1, vcc
	v_lshlrev_b32_e32 v12, v12, v19
	v_cmp_ne_u32_e32 vcc, v10, v14
	v_lshl_or_b32 v6, v6, 9, v4
	v_lshl_or_b32 v8, v8, 9, v4
	v_cndmask_b32_e64 v10, 0, 1, vcc
	v_cmp_ne_u32_e32 vcc, v12, v16
	v_or_b32_e32 v10, v18, v10
	v_and_b32_sdwa v7, v7, s13 dst_sel:DWORD dst_unused:UNUSED_PAD src0_sel:WORD_1 src1_sel:DWORD
	v_cndmask_b32_e64 v12, 0, 1, vcc
	v_cmp_gt_i32_e32 vcc, 1, v11
	v_or_b32_e32 v12, v19, v12
	v_lshrrev_b32_e32 v9, 16, v9
	v_cndmask_b32_e32 v10, v15, v10, vcc
	v_cmp_gt_i32_e32 vcc, 1, v13
	v_and_b32_e32 v14, 7, v10
	v_cmp_eq_u32_e64 s[0:1], 3, v14
	v_cndmask_b32_e32 v12, v17, v12, vcc
	v_cmp_lt_i32_e32 vcc, 5, v14
	v_lshrrev_b32_e32 v10, 2, v10
	v_and_b32_e32 v15, 7, v12
	s_or_b64 vcc, s[0:1], vcc
	v_cmp_lt_i32_e64 s[2:3], 5, v15
	v_cmp_eq_u32_e64 s[4:5], 3, v15
	v_addc_co_u32_e32 v10, vcc, 0, v10, vcc
	v_lshrrev_b32_e32 v12, 2, v12
	s_or_b64 vcc, s[4:5], s[2:3]
	v_addc_co_u32_e32 v12, vcc, 0, v12, vcc
	v_cmp_gt_i32_e32 vcc, 31, v11
	s_nop 1
	v_cndmask_b32_e32 v10, v4, v10, vcc
	v_cmp_gt_i32_e32 vcc, 31, v13
	s_nop 1
	v_cndmask_b32_e32 v12, v4, v12, vcc
	v_cmp_eq_u32_e32 vcc, s12, v11
	s_nop 1
	v_cndmask_b32_e32 v6, v10, v6, vcc
	v_cmp_eq_u32_e32 vcc, s12, v13
	v_bitop3_b32 v6, v7, s16, v6 bitop3:0xc8
	s_nop 0
	v_cndmask_b32_e32 v8, v12, v8, vcc
	v_and_or_b32 v8, v9, s13, v8
	v_lshl_or_b32 v6, v8, 16, v6
	global_store_dword v[2:3], v6, off
	global_load_dword v8, v[38:39], off offset:952
	ds_read2_b32 v[6:7], v5 offset0:110 offset1:135
	v_lshl_add_u64 v[2:3], v[2:3], 0, s[10:11]
	s_waitcnt lgkmcnt(0)
	v_lshrrev_b32_e32 v5, 16, v6
	s_waitcnt vmcnt(0)
	v_mul_f16_sdwa v9, v5, v8 dst_sel:DWORD dst_unused:UNUSED_PAD src0_sel:DWORD src1_sel:WORD_1
	v_mul_f16_sdwa v10, v6, v8 dst_sel:DWORD dst_unused:UNUSED_PAD src0_sel:DWORD src1_sel:WORD_1
	v_fma_f16 v6, v6, v8, v9
	v_fma_f16 v5, v8, v5, -v10
	v_cvt_f32_f16_e32 v6, v6
	v_cvt_f32_f16_e32 v5, v5
	v_cvt_f64_f32_e32 v[8:9], v6
	v_cvt_f64_f32_e32 v[10:11], v5
	v_mul_f64 v[8:9], v[8:9], s[6:7]
	v_mul_f64 v[10:11], v[10:11], s[6:7]
	v_and_or_b32 v5, v9, s15, v8
	v_and_or_b32 v10, v11, s15, v10
	v_cmp_ne_u32_e32 vcc, 0, v5
	v_lshrrev_b32_e32 v6, 8, v9
	v_bfe_u32 v8, v9, 20, 11
	v_cndmask_b32_e64 v5, 0, 1, vcc
	v_cmp_ne_u32_e32 vcc, 0, v10
	v_lshrrev_b32_e32 v12, 8, v11
	v_bfe_u32 v13, v11, 20, 11
	v_sub_u32_e32 v14, 0x3f1, v8
	v_cndmask_b32_e64 v10, 0, 1, vcc
	v_and_or_b32 v5, v6, s14, v5
	v_sub_u32_e32 v15, 0x3f1, v13
	v_med3_i32 v6, v14, 0, 13
	v_and_or_b32 v10, v12, s14, v10
	v_or_b32_e32 v14, 0x1000, v5
	v_add_u32_e32 v8, 0xfffffc10, v8
	v_med3_i32 v12, v15, 0, 13
	v_cmp_ne_u32_e32 vcc, 0, v5
	v_or_b32_e32 v16, 0x1000, v10
	v_lshrrev_b32_e32 v18, v6, v14
	v_add_u32_e32 v13, 0xfffffc10, v13
	v_lshl_or_b32 v15, v8, 12, v5
	v_cndmask_b32_e64 v5, 0, 1, vcc
	v_cmp_ne_u32_e32 vcc, 0, v10
	v_lshrrev_b32_e32 v19, v12, v16
	v_lshlrev_b32_e32 v6, v6, v18
	v_lshl_or_b32 v17, v13, 12, v10
	v_cndmask_b32_e64 v10, 0, 1, vcc
	v_lshlrev_b32_e32 v12, v12, v19
	v_cmp_ne_u32_e32 vcc, v6, v14
	v_lshl_or_b32 v5, v5, 9, v4
	v_lshl_or_b32 v10, v10, 9, v4
	v_cndmask_b32_e64 v6, 0, 1, vcc
	v_cmp_ne_u32_e32 vcc, v12, v16
	v_or_b32_e32 v6, v18, v6
	v_and_b32_sdwa v9, v9, s13 dst_sel:DWORD dst_unused:UNUSED_PAD src0_sel:WORD_1 src1_sel:DWORD
	v_cndmask_b32_e64 v12, 0, 1, vcc
	v_cmp_gt_i32_e32 vcc, 1, v8
	v_or_b32_e32 v12, v19, v12
	v_lshrrev_b32_e32 v11, 16, v11
	v_cndmask_b32_e32 v6, v15, v6, vcc
	v_cmp_gt_i32_e32 vcc, 1, v13
	v_and_b32_e32 v14, 7, v6
	v_cmp_eq_u32_e64 s[0:1], 3, v14
	v_cndmask_b32_e32 v12, v17, v12, vcc
	v_cmp_lt_i32_e32 vcc, 5, v14
	v_lshrrev_b32_e32 v6, 2, v6
	v_and_b32_e32 v15, 7, v12
	s_or_b64 vcc, s[0:1], vcc
	v_cmp_lt_i32_e64 s[2:3], 5, v15
	v_cmp_eq_u32_e64 s[4:5], 3, v15
	v_addc_co_u32_e32 v6, vcc, 0, v6, vcc
	v_lshrrev_b32_e32 v12, 2, v12
	s_or_b64 vcc, s[4:5], s[2:3]
	v_addc_co_u32_e32 v12, vcc, 0, v12, vcc
	v_cmp_gt_i32_e32 vcc, 31, v8
	s_nop 1
	v_cndmask_b32_e32 v6, v4, v6, vcc
	v_cmp_gt_i32_e32 vcc, 31, v13
	s_nop 1
	v_cndmask_b32_e32 v12, v4, v12, vcc
	v_cmp_eq_u32_e32 vcc, s12, v8
	s_nop 1
	v_cndmask_b32_e32 v5, v6, v5, vcc
	v_cmp_eq_u32_e32 vcc, s12, v13
	v_bitop3_b32 v5, v9, s16, v5 bitop3:0xc8
	s_nop 0
	v_cndmask_b32_e32 v6, v12, v10, vcc
	v_and_or_b32 v6, v11, s13, v6
	v_lshl_or_b32 v5, v6, 16, v5
	global_store_dword v[2:3], v5, off
	global_load_dword v5, v[38:39], off offset:1052
	v_lshrrev_b32_e32 v6, 16, v7
	v_lshl_add_u64 v[2:3], v[2:3], 0, s[10:11]
	s_waitcnt vmcnt(0)
	v_mul_f16_sdwa v8, v6, v5 dst_sel:DWORD dst_unused:UNUSED_PAD src0_sel:DWORD src1_sel:WORD_1
	v_mul_f16_sdwa v9, v7, v5 dst_sel:DWORD dst_unused:UNUSED_PAD src0_sel:DWORD src1_sel:WORD_1
	v_fma_f16 v7, v7, v5, v8
	v_fma_f16 v5, v5, v6, -v9
	v_cvt_f32_f16_e32 v6, v7
	v_cvt_f32_f16_e32 v5, v5
	v_cvt_f64_f32_e32 v[6:7], v6
	v_cvt_f64_f32_e32 v[8:9], v5
	v_mul_f64 v[6:7], v[6:7], s[6:7]
	v_mul_f64 v[8:9], v[8:9], s[6:7]
	v_and_or_b32 v5, v7, s15, v6
	v_and_or_b32 v8, v9, s15, v8
	v_cmp_ne_u32_e32 vcc, 0, v5
	v_lshrrev_b32_e32 v6, 8, v7
	v_bfe_u32 v10, v7, 20, 11
	v_cndmask_b32_e64 v5, 0, 1, vcc
	v_cmp_ne_u32_e32 vcc, 0, v8
	v_lshrrev_b32_e32 v11, 8, v9
	v_bfe_u32 v12, v9, 20, 11
	v_sub_u32_e32 v13, 0x3f1, v10
	v_cndmask_b32_e64 v8, 0, 1, vcc
	v_and_or_b32 v5, v6, s14, v5
	v_sub_u32_e32 v14, 0x3f1, v12
	v_med3_i32 v6, v13, 0, 13
	v_and_or_b32 v8, v11, s14, v8
	v_or_b32_e32 v13, 0x1000, v5
	v_add_u32_e32 v10, 0xfffffc10, v10
	v_med3_i32 v11, v14, 0, 13
	v_cmp_ne_u32_e32 vcc, 0, v5
	v_or_b32_e32 v15, 0x1000, v8
	v_lshrrev_b32_e32 v17, v6, v13
	v_add_u32_e32 v12, 0xfffffc10, v12
	v_lshl_or_b32 v14, v10, 12, v5
	v_cndmask_b32_e64 v5, 0, 1, vcc
	v_cmp_ne_u32_e32 vcc, 0, v8
	v_lshrrev_b32_e32 v18, v11, v15
	v_lshlrev_b32_e32 v6, v6, v17
	v_lshl_or_b32 v16, v12, 12, v8
	v_cndmask_b32_e64 v8, 0, 1, vcc
	v_lshlrev_b32_e32 v11, v11, v18
	v_cmp_ne_u32_e32 vcc, v6, v13
	v_lshl_or_b32 v5, v5, 9, v4
	v_lshl_or_b32 v8, v8, 9, v4
	v_cndmask_b32_e64 v6, 0, 1, vcc
	v_cmp_ne_u32_e32 vcc, v11, v15
	v_or_b32_e32 v6, v17, v6
	v_and_b32_sdwa v7, v7, s13 dst_sel:DWORD dst_unused:UNUSED_PAD src0_sel:WORD_1 src1_sel:DWORD
	v_cndmask_b32_e64 v11, 0, 1, vcc
	v_cmp_gt_i32_e32 vcc, 1, v10
	v_or_b32_e32 v11, v18, v11
	v_lshrrev_b32_e32 v9, 16, v9
	v_cndmask_b32_e32 v6, v14, v6, vcc
	v_cmp_gt_i32_e32 vcc, 1, v12
	v_and_b32_e32 v13, 7, v6
	v_cmp_eq_u32_e64 s[0:1], 3, v13
	v_cndmask_b32_e32 v11, v16, v11, vcc
	v_cmp_lt_i32_e32 vcc, 5, v13
	v_lshrrev_b32_e32 v6, 2, v6
	v_and_b32_e32 v14, 7, v11
	s_or_b64 vcc, s[0:1], vcc
	v_cmp_lt_i32_e64 s[2:3], 5, v14
	v_cmp_eq_u32_e64 s[4:5], 3, v14
	v_addc_co_u32_e32 v6, vcc, 0, v6, vcc
	v_lshrrev_b32_e32 v11, 2, v11
	s_or_b64 vcc, s[4:5], s[2:3]
	v_addc_co_u32_e32 v11, vcc, 0, v11, vcc
	v_cmp_gt_i32_e32 vcc, 31, v10
	s_nop 1
	v_cndmask_b32_e32 v6, v4, v6, vcc
	v_cmp_gt_i32_e32 vcc, 31, v12
	s_nop 1
	v_cndmask_b32_e32 v11, v4, v11, vcc
	v_cmp_eq_u32_e32 vcc, s12, v10
	s_nop 1
	v_cndmask_b32_e32 v5, v6, v5, vcc
	v_cmp_eq_u32_e32 vcc, s12, v12
	v_bitop3_b32 v5, v7, s16, v5 bitop3:0xc8
	s_nop 0
	v_cndmask_b32_e32 v6, v11, v8, vcc
	v_and_or_b32 v6, v9, s13, v6
	v_lshl_or_b32 v5, v6, 16, v5
	global_store_dword v[2:3], v5, off
	global_load_dword v5, v[38:39], off offset:1152
	ds_read2_b32 v[6:7], v37 offset0:32 offset1:57
	v_or_b32_e32 v11, 0x120, v36
	v_mad_u64_u32 v[8:9], s[0:1], s8, v11, 0
	v_mov_b32_e32 v10, v9
	v_mad_u64_u32 v[10:11], s[0:1], s9, v11, v[10:11]
	s_waitcnt lgkmcnt(0)
	v_lshrrev_b32_e32 v9, 16, v6
	s_mulk_i32 s9, 0xc8
	s_waitcnt vmcnt(0)
	v_mul_f16_sdwa v11, v9, v5 dst_sel:DWORD dst_unused:UNUSED_PAD src0_sel:DWORD src1_sel:WORD_1
	v_mul_f16_sdwa v12, v6, v5 dst_sel:DWORD dst_unused:UNUSED_PAD src0_sel:DWORD src1_sel:WORD_1
	v_fma_f16 v6, v6, v5, v11
	v_fma_f16 v5, v5, v9, -v12
	v_cvt_f32_f16_e32 v6, v6
	v_cvt_f32_f16_e32 v5, v5
	v_mov_b32_e32 v9, v10
	v_lshl_add_u64 v[0:1], v[8:9], 2, v[0:1]
	v_cvt_f64_f32_e32 v[8:9], v6
	v_cvt_f64_f32_e32 v[10:11], v5
	v_mul_f64 v[8:9], v[8:9], s[6:7]
	v_mul_f64 v[10:11], v[10:11], s[6:7]
	v_and_or_b32 v5, v9, s15, v8
	v_and_or_b32 v10, v11, s15, v10
	v_cmp_ne_u32_e32 vcc, 0, v5
	v_lshrrev_b32_e32 v6, 8, v9
	v_bfe_u32 v8, v9, 20, 11
	v_cndmask_b32_e64 v5, 0, 1, vcc
	v_cmp_ne_u32_e32 vcc, 0, v10
	v_lshrrev_b32_e32 v12, 8, v11
	v_bfe_u32 v13, v11, 20, 11
	v_sub_u32_e32 v14, 0x3f1, v8
	v_cndmask_b32_e64 v10, 0, 1, vcc
	v_and_or_b32 v5, v6, s14, v5
	v_sub_u32_e32 v15, 0x3f1, v13
	v_med3_i32 v6, v14, 0, 13
	v_and_or_b32 v10, v12, s14, v10
	v_or_b32_e32 v14, 0x1000, v5
	v_add_u32_e32 v8, 0xfffffc10, v8
	v_med3_i32 v12, v15, 0, 13
	v_cmp_ne_u32_e32 vcc, 0, v5
	v_or_b32_e32 v16, 0x1000, v10
	v_lshrrev_b32_e32 v18, v6, v14
	v_add_u32_e32 v13, 0xfffffc10, v13
	v_lshl_or_b32 v15, v8, 12, v5
	v_cndmask_b32_e64 v5, 0, 1, vcc
	v_cmp_ne_u32_e32 vcc, 0, v10
	v_lshrrev_b32_e32 v19, v12, v16
	v_lshlrev_b32_e32 v6, v6, v18
	v_lshl_or_b32 v17, v13, 12, v10
	v_cndmask_b32_e64 v10, 0, 1, vcc
	v_lshlrev_b32_e32 v12, v12, v19
	v_cmp_ne_u32_e32 vcc, v6, v14
	v_lshl_or_b32 v5, v5, 9, v4
	v_lshl_or_b32 v10, v10, 9, v4
	v_cndmask_b32_e64 v6, 0, 1, vcc
	v_cmp_ne_u32_e32 vcc, v12, v16
	v_or_b32_e32 v6, v18, v6
	v_and_b32_sdwa v9, v9, s13 dst_sel:DWORD dst_unused:UNUSED_PAD src0_sel:WORD_1 src1_sel:DWORD
	v_cndmask_b32_e64 v12, 0, 1, vcc
	v_cmp_gt_i32_e32 vcc, 1, v8
	v_or_b32_e32 v12, v19, v12
	v_lshrrev_b32_e32 v11, 16, v11
	v_cndmask_b32_e32 v6, v15, v6, vcc
	v_cmp_gt_i32_e32 vcc, 1, v13
	v_and_b32_e32 v14, 7, v6
	v_cmp_eq_u32_e64 s[0:1], 3, v14
	v_cndmask_b32_e32 v12, v17, v12, vcc
	v_cmp_lt_i32_e32 vcc, 5, v14
	v_lshrrev_b32_e32 v6, 2, v6
	v_and_b32_e32 v15, 7, v12
	s_or_b64 vcc, s[0:1], vcc
	v_cmp_lt_i32_e64 s[2:3], 5, v15
	v_cmp_eq_u32_e64 s[4:5], 3, v15
	v_addc_co_u32_e32 v6, vcc, 0, v6, vcc
	v_lshrrev_b32_e32 v12, 2, v12
	s_or_b64 vcc, s[4:5], s[2:3]
	v_addc_co_u32_e32 v12, vcc, 0, v12, vcc
	v_cmp_gt_i32_e32 vcc, 31, v8
	s_nop 1
	v_cndmask_b32_e32 v6, v4, v6, vcc
	v_cmp_gt_i32_e32 vcc, 31, v13
	s_nop 1
	v_cndmask_b32_e32 v12, v4, v12, vcc
	v_cmp_eq_u32_e32 vcc, s12, v8
	s_nop 1
	v_cndmask_b32_e32 v5, v6, v5, vcc
	v_cmp_eq_u32_e32 vcc, s12, v13
	v_bitop3_b32 v5, v9, s16, v5 bitop3:0xc8
	s_nop 0
	v_cndmask_b32_e32 v6, v12, v10, vcc
	v_and_or_b32 v6, v11, s13, v6
	v_lshl_or_b32 v5, v6, 16, v5
	global_store_dword v[0:1], v5, off
	global_load_dword v0, v[38:39], off offset:1252
	v_lshrrev_b32_e32 v5, 16, v7
	v_mov_b32_e32 v1, 0xc8
	s_waitcnt vmcnt(0)
	v_mul_f16_sdwa v6, v5, v0 dst_sel:DWORD dst_unused:UNUSED_PAD src0_sel:DWORD src1_sel:WORD_1
	v_mul_f16_sdwa v8, v7, v0 dst_sel:DWORD dst_unused:UNUSED_PAD src0_sel:DWORD src1_sel:WORD_1
	v_fma_f16 v6, v7, v0, v6
	v_fma_f16 v0, v0, v5, -v8
	v_cvt_f32_f16_e32 v5, v6
	v_cvt_f32_f16_e32 v6, v0
	v_mad_u64_u32 v[0:1], s[0:1], s8, v1, v[2:3]
	v_cvt_f64_f32_e32 v[2:3], v5
	v_cvt_f64_f32_e32 v[6:7], v6
	v_mul_f64 v[2:3], v[2:3], s[6:7]
	v_mul_f64 v[6:7], v[6:7], s[6:7]
	v_and_or_b32 v2, v3, s15, v2
	v_and_or_b32 v6, v7, s15, v6
	v_cmp_ne_u32_e32 vcc, 0, v2
	v_lshrrev_b32_e32 v5, 8, v3
	v_bfe_u32 v8, v3, 20, 11
	v_cndmask_b32_e64 v2, 0, 1, vcc
	v_cmp_ne_u32_e32 vcc, 0, v6
	v_lshrrev_b32_e32 v9, 8, v7
	v_bfe_u32 v10, v7, 20, 11
	v_sub_u32_e32 v11, 0x3f1, v8
	v_cndmask_b32_e64 v6, 0, 1, vcc
	v_and_or_b32 v2, v5, s14, v2
	v_sub_u32_e32 v12, 0x3f1, v10
	v_med3_i32 v5, v11, 0, 13
	v_and_or_b32 v6, v9, s14, v6
	v_or_b32_e32 v11, 0x1000, v2
	v_add_u32_e32 v8, 0xfffffc10, v8
	v_med3_i32 v9, v12, 0, 13
	v_cmp_ne_u32_e32 vcc, 0, v2
	v_or_b32_e32 v13, 0x1000, v6
	v_lshrrev_b32_e32 v15, v5, v11
	v_add_u32_e32 v10, 0xfffffc10, v10
	v_lshl_or_b32 v12, v8, 12, v2
	v_cndmask_b32_e64 v2, 0, 1, vcc
	v_cmp_ne_u32_e32 vcc, 0, v6
	v_lshrrev_b32_e32 v16, v9, v13
	v_lshlrev_b32_e32 v5, v5, v15
	v_lshl_or_b32 v14, v10, 12, v6
	v_cndmask_b32_e64 v6, 0, 1, vcc
	v_lshlrev_b32_e32 v9, v9, v16
	v_cmp_ne_u32_e32 vcc, v5, v11
	v_lshl_or_b32 v2, v2, 9, v4
	v_lshl_or_b32 v6, v6, 9, v4
	v_cndmask_b32_e64 v5, 0, 1, vcc
	v_cmp_ne_u32_e32 vcc, v9, v13
	v_or_b32_e32 v5, v15, v5
	v_and_b32_sdwa v3, v3, s13 dst_sel:DWORD dst_unused:UNUSED_PAD src0_sel:WORD_1 src1_sel:DWORD
	v_cndmask_b32_e64 v9, 0, 1, vcc
	v_cmp_gt_i32_e32 vcc, 1, v8
	v_or_b32_e32 v9, v16, v9
	v_lshrrev_b32_e32 v7, 16, v7
	v_cndmask_b32_e32 v5, v12, v5, vcc
	v_cmp_gt_i32_e32 vcc, 1, v10
	v_and_b32_e32 v11, 7, v5
	v_cmp_eq_u32_e64 s[0:1], 3, v11
	v_cndmask_b32_e32 v9, v14, v9, vcc
	v_cmp_lt_i32_e32 vcc, 5, v11
	v_lshrrev_b32_e32 v5, 2, v5
	v_and_b32_e32 v12, 7, v9
	s_or_b64 vcc, s[0:1], vcc
	v_cmp_lt_i32_e64 s[2:3], 5, v12
	v_cmp_eq_u32_e64 s[4:5], 3, v12
	v_addc_co_u32_e32 v5, vcc, 0, v5, vcc
	v_lshrrev_b32_e32 v9, 2, v9
	s_or_b64 vcc, s[4:5], s[2:3]
	v_addc_co_u32_e32 v9, vcc, 0, v9, vcc
	v_cmp_gt_i32_e32 vcc, 31, v8
	v_add_u32_e32 v1, s9, v1
	s_nop 0
	v_cndmask_b32_e32 v5, v4, v5, vcc
	v_cmp_gt_i32_e32 vcc, 31, v10
	s_nop 1
	v_cndmask_b32_e32 v4, v4, v9, vcc
	v_cmp_eq_u32_e32 vcc, s12, v8
	s_nop 1
	v_cndmask_b32_e32 v2, v5, v2, vcc
	v_cmp_eq_u32_e32 vcc, s12, v10
	v_bitop3_b32 v2, v3, s16, v2 bitop3:0xc8
	s_nop 0
	v_cndmask_b32_e32 v4, v4, v6, vcc
	v_and_or_b32 v4, v7, s13, v4
	v_lshl_or_b32 v2, v4, 16, v2
	global_store_dword v[0:1], v2, off
.LBB0_15:
	s_endpgm
	.section	.rodata,"a",@progbits
	.p2align	6, 0x0
	.amdhsa_kernel bluestein_single_back_len325_dim1_half_op_CI_CI
		.amdhsa_group_segment_fixed_size 5200
		.amdhsa_private_segment_fixed_size 0
		.amdhsa_kernarg_size 104
		.amdhsa_user_sgpr_count 2
		.amdhsa_user_sgpr_dispatch_ptr 0
		.amdhsa_user_sgpr_queue_ptr 0
		.amdhsa_user_sgpr_kernarg_segment_ptr 1
		.amdhsa_user_sgpr_dispatch_id 0
		.amdhsa_user_sgpr_kernarg_preload_length 0
		.amdhsa_user_sgpr_kernarg_preload_offset 0
		.amdhsa_user_sgpr_private_segment_size 0
		.amdhsa_uses_dynamic_stack 0
		.amdhsa_enable_private_segment 0
		.amdhsa_system_sgpr_workgroup_id_x 1
		.amdhsa_system_sgpr_workgroup_id_y 0
		.amdhsa_system_sgpr_workgroup_id_z 0
		.amdhsa_system_sgpr_workgroup_info 0
		.amdhsa_system_vgpr_workitem_id 0
		.amdhsa_next_free_vgpr 184
		.amdhsa_next_free_sgpr 27
		.amdhsa_accum_offset 184
		.amdhsa_reserve_vcc 1
		.amdhsa_float_round_mode_32 0
		.amdhsa_float_round_mode_16_64 0
		.amdhsa_float_denorm_mode_32 3
		.amdhsa_float_denorm_mode_16_64 3
		.amdhsa_dx10_clamp 1
		.amdhsa_ieee_mode 1
		.amdhsa_fp16_overflow 0
		.amdhsa_tg_split 0
		.amdhsa_exception_fp_ieee_invalid_op 0
		.amdhsa_exception_fp_denorm_src 0
		.amdhsa_exception_fp_ieee_div_zero 0
		.amdhsa_exception_fp_ieee_overflow 0
		.amdhsa_exception_fp_ieee_underflow 0
		.amdhsa_exception_fp_ieee_inexact 0
		.amdhsa_exception_int_div_zero 0
	.end_amdhsa_kernel
	.text
.Lfunc_end0:
	.size	bluestein_single_back_len325_dim1_half_op_CI_CI, .Lfunc_end0-bluestein_single_back_len325_dim1_half_op_CI_CI
                                        ; -- End function
	.section	.AMDGPU.csdata,"",@progbits
; Kernel info:
; codeLenInByte = 42180
; NumSgprs: 33
; NumVgprs: 184
; NumAgprs: 0
; TotalNumVgprs: 184
; ScratchSize: 0
; MemoryBound: 0
; FloatMode: 240
; IeeeMode: 1
; LDSByteSize: 5200 bytes/workgroup (compile time only)
; SGPRBlocks: 4
; VGPRBlocks: 22
; NumSGPRsForWavesPerEU: 33
; NumVGPRsForWavesPerEU: 184
; AccumOffset: 184
; Occupancy: 2
; WaveLimiterHint : 1
; COMPUTE_PGM_RSRC2:SCRATCH_EN: 0
; COMPUTE_PGM_RSRC2:USER_SGPR: 2
; COMPUTE_PGM_RSRC2:TRAP_HANDLER: 0
; COMPUTE_PGM_RSRC2:TGID_X_EN: 1
; COMPUTE_PGM_RSRC2:TGID_Y_EN: 0
; COMPUTE_PGM_RSRC2:TGID_Z_EN: 0
; COMPUTE_PGM_RSRC2:TIDIG_COMP_CNT: 0
; COMPUTE_PGM_RSRC3_GFX90A:ACCUM_OFFSET: 45
; COMPUTE_PGM_RSRC3_GFX90A:TG_SPLIT: 0
	.text
	.p2alignl 6, 3212836864
	.fill 256, 4, 3212836864
	.type	__hip_cuid_cb1aebbfc0238e7c,@object ; @__hip_cuid_cb1aebbfc0238e7c
	.section	.bss,"aw",@nobits
	.globl	__hip_cuid_cb1aebbfc0238e7c
__hip_cuid_cb1aebbfc0238e7c:
	.byte	0                               ; 0x0
	.size	__hip_cuid_cb1aebbfc0238e7c, 1

	.ident	"AMD clang version 19.0.0git (https://github.com/RadeonOpenCompute/llvm-project roc-6.4.0 25133 c7fe45cf4b819c5991fe208aaa96edf142730f1d)"
	.section	".note.GNU-stack","",@progbits
	.addrsig
	.addrsig_sym __hip_cuid_cb1aebbfc0238e7c
	.amdgpu_metadata
---
amdhsa.kernels:
  - .agpr_count:     0
    .args:
      - .actual_access:  read_only
        .address_space:  global
        .offset:         0
        .size:           8
        .value_kind:     global_buffer
      - .actual_access:  read_only
        .address_space:  global
        .offset:         8
        .size:           8
        .value_kind:     global_buffer
      - .actual_access:  read_only
        .address_space:  global
        .offset:         16
        .size:           8
        .value_kind:     global_buffer
      - .actual_access:  read_only
        .address_space:  global
        .offset:         24
        .size:           8
        .value_kind:     global_buffer
      - .actual_access:  read_only
        .address_space:  global
        .offset:         32
        .size:           8
        .value_kind:     global_buffer
      - .offset:         40
        .size:           8
        .value_kind:     by_value
      - .address_space:  global
        .offset:         48
        .size:           8
        .value_kind:     global_buffer
      - .address_space:  global
        .offset:         56
        .size:           8
        .value_kind:     global_buffer
      - .address_space:  global
        .offset:         64
        .size:           8
        .value_kind:     global_buffer
      - .address_space:  global
        .offset:         72
        .size:           8
        .value_kind:     global_buffer
      - .offset:         80
        .size:           4
        .value_kind:     by_value
      - .address_space:  global
        .offset:         88
        .size:           8
        .value_kind:     global_buffer
      - .address_space:  global
        .offset:         96
        .size:           8
        .value_kind:     global_buffer
    .group_segment_fixed_size: 5200
    .kernarg_segment_align: 8
    .kernarg_segment_size: 104
    .language:       OpenCL C
    .language_version:
      - 2
      - 0
    .max_flat_workgroup_size: 52
    .name:           bluestein_single_back_len325_dim1_half_op_CI_CI
    .private_segment_fixed_size: 0
    .sgpr_count:     33
    .sgpr_spill_count: 0
    .symbol:         bluestein_single_back_len325_dim1_half_op_CI_CI.kd
    .uniform_work_group_size: 1
    .uses_dynamic_stack: false
    .vgpr_count:     184
    .vgpr_spill_count: 0
    .wavefront_size: 64
amdhsa.target:   amdgcn-amd-amdhsa--gfx950
amdhsa.version:
  - 1
  - 2
...

	.end_amdgpu_metadata
